;; amdgpu-corpus repo=ROCm/rocFFT kind=compiled arch=gfx950 opt=O3
	.text
	.amdgcn_target "amdgcn-amd-amdhsa--gfx950"
	.amdhsa_code_object_version 6
	.protected	bluestein_single_fwd_len952_dim1_dp_op_CI_CI ; -- Begin function bluestein_single_fwd_len952_dim1_dp_op_CI_CI
	.globl	bluestein_single_fwd_len952_dim1_dp_op_CI_CI
	.p2align	8
	.type	bluestein_single_fwd_len952_dim1_dp_op_CI_CI,@function
bluestein_single_fwd_len952_dim1_dp_op_CI_CI: ; @bluestein_single_fwd_len952_dim1_dp_op_CI_CI
; %bb.0:
	s_load_dwordx4 s[8:11], s[0:1], 0x28
	v_mul_u32_u24_e32 v1, 0x3c4, v0
	v_lshrrev_b32_e32 v2, 16, v1
	v_mad_u64_u32 v[4:5], s[2:3], s2, 3, v[2:3]
	v_mov_b32_e32 v5, 0
	s_waitcnt lgkmcnt(0)
	v_cmp_gt_u64_e32 vcc, s[8:9], v[4:5]
	s_and_saveexec_b64 s[2:3], vcc
	s_cbranch_execz .LBB0_23
; %bb.1:
	v_mul_lo_u16_e32 v1, 0x44, v2
	s_mov_b32 s2, 0xaaaaaaab
	v_sub_u16_e32 v226, v0, v1
	v_mul_hi_u32 v0, v4, s2
	v_lshrrev_b32_e32 v0, 1, v0
	s_load_dwordx2 s[8:9], s[0:1], 0x0
	s_load_dwordx2 s[12:13], s[0:1], 0x38
	v_lshl_add_u32 v0, v0, 1, v0
	v_sub_u32_e32 v0, v4, v0
	v_mul_u32_u24_e32 v246, 0x3b8, v0
	v_lshlrev_b32_e32 v0, 4, v246
	v_accvgpr_write_b32 a4, v4
	v_cmp_gt_u16_e32 vcc, 56, v226
	v_lshlrev_b32_e32 v232, 4, v226
	v_accvgpr_write_b32 a1, v0
	s_and_saveexec_b64 s[14:15], vcc
	s_cbranch_execz .LBB0_3
; %bb.2:
	s_load_dwordx2 s[2:3], s[0:1], 0x18
	v_accvgpr_read_b32 v10, a4
	v_mov_b32_e32 v233, 0
	s_waitcnt lgkmcnt(0)
	v_lshl_add_u64 v[100:101], s[8:9], 0, v[232:233]
	v_mov_b32_e32 v0, s10
	s_load_dwordx4 s[4:7], s[2:3], 0x0
	v_mov_b32_e32 v1, s11
	v_mov_b32_e32 v29, 0x380
	v_or_b32_e32 v63, 0x1c0, v226
	v_or_b32_e32 v142, 0x380, v226
	s_waitcnt lgkmcnt(0)
	v_mad_u64_u32 v[2:3], s[2:3], s6, v10, 0
	v_mad_u64_u32 v[4:5], s[2:3], s4, v226, 0
	v_mov_b32_e32 v6, v3
	v_mov_b32_e32 v8, v5
	v_mad_u64_u32 v[6:7], s[2:3], s7, v10, v[6:7]
	v_mov_b32_e32 v3, v6
	v_mad_u64_u32 v[6:7], s[2:3], s5, v226, v[8:9]
	s_movk_i32 s2, 0x1000
	s_nop 0
	v_add_co_u32_e64 v58, s[2:3], s2, v100
	v_mov_b32_e32 v5, v6
	v_lshl_add_u64 v[24:25], v[2:3], 4, v[0:1]
	s_movk_i32 s6, 0x2000
	v_addc_co_u32_e64 v59, s[2:3], 0, v101, s[2:3]
	v_lshl_add_u64 v[26:27], v[4:5], 4, v[24:25]
	v_add_co_u32_e64 v122, s[2:3], s6, v100
	global_load_dwordx4 v[0:3], v232, s[8:9]
	global_load_dwordx4 v[4:7], v[26:27], off
	v_addc_co_u32_e64 v123, s[2:3], 0, v101, s[2:3]
	s_mul_i32 s6, s5, 0x380
	v_mad_u64_u32 v[26:27], s[2:3], s4, v29, v[26:27]
	v_lshlrev_b32_e32 v60, 4, v63
	v_lshlrev_b32_e32 v61, 4, v142
	v_mad_u64_u32 v[66:67], s[2:3], s4, v63, 0
	v_add_u32_e32 v27, s6, v27
	global_load_dwordx4 v[8:11], v232, s[8:9] offset:896
	global_load_dwordx4 v[12:15], v232, s[8:9] offset:1792
	;; [unrolled: 1-line block ×4, first 2 shown]
	global_load_dwordx4 v[30:33], v61, s[8:9]
	global_load_dwordx4 v[34:37], v[58:59], off offset:384
	global_load_dwordx4 v[38:41], v[58:59], off offset:1280
	;; [unrolled: 1-line block ×4, first 2 shown]
	global_load_dwordx4 v[50:53], v60, s[8:9]
	global_load_dwordx4 v[54:57], v[122:123], off offset:768
	v_mov_b32_e32 v62, v67
	global_load_dwordx4 v[58:61], v[26:27], off
	v_mad_u64_u32 v[26:27], s[2:3], s4, v29, v[26:27]
	v_mad_u64_u32 v[62:63], s[2:3], s5, v63, v[62:63]
	v_add_u32_e32 v27, s6, v27
	v_mov_b32_e32 v67, v62
	global_load_dwordx4 v[62:65], v[26:27], off
	v_mad_u64_u32 v[26:27], s[2:3], s4, v29, v[26:27]
	v_add_u32_e32 v27, s6, v27
	v_lshl_add_u64 v[74:75], v[66:67], 4, v[24:25]
	global_load_dwordx4 v[66:69], v[26:27], off
	global_load_dwordx4 v[70:73], v[74:75], off
	v_mad_u64_u32 v[26:27], s[2:3], s4, v29, v[26:27]
	v_add_u32_e32 v27, s6, v27
	global_load_dwordx4 v[74:77], v[26:27], off
	v_mad_u64_u32 v[26:27], s[2:3], s4, v29, v[26:27]
	v_add_u32_e32 v27, s6, v27
	;; [unrolled: 3-line block ×3, first 2 shown]
	global_load_dwordx4 v[82:85], v[26:27], off
	v_mad_u64_u32 v[26:27], s[2:3], s4, v29, v[26:27]
	v_mov_b32_e32 v90, 0x700
	v_add_u32_e32 v27, s6, v27
	s_mul_i32 s7, s5, 0x700
	global_load_dwordx4 v[86:89], v[26:27], off
	v_mad_u64_u32 v[26:27], s[2:3], s4, v90, v[26:27]
	v_add_u32_e32 v27, s7, v27
	global_load_dwordx4 v[90:93], v[26:27], off
	v_mad_u64_u32 v[26:27], s[2:3], s4, v29, v[26:27]
	v_add_u32_e32 v27, s6, v27
	;; [unrolled: 3-line block ×4, first 2 shown]
	global_load_dwordx4 v[106:109], v[26:27], off
	global_load_dwordx4 v[110:113], v[122:123], off offset:1664
	global_load_dwordx4 v[114:117], v[122:123], off offset:2560
	v_mad_u64_u32 v[26:27], s[2:3], s4, v29, v[26:27]
	v_add_u32_e32 v27, s6, v27
	global_load_dwordx4 v[118:121], v[26:27], off
	s_nop 0
	global_load_dwordx4 v[122:125], v[122:123], off offset:3456
	v_mad_u64_u32 v[26:27], s[2:3], s4, v29, v[26:27]
	s_movk_i32 s2, 0x3000
	v_add_u32_e32 v27, s6, v27
	v_add_co_u32_e64 v100, s[2:3], s2, v100
	global_load_dwordx4 v[126:129], v[26:27], off
	s_nop 0
	v_addc_co_u32_e64 v101, s[2:3], 0, v101, s[2:3]
	v_mad_u64_u32 v[26:27], s[2:3], s4, v29, v[26:27]
	v_add_u32_e32 v27, s6, v27
	global_load_dwordx4 v[130:133], v[100:101], off offset:256
	global_load_dwordx4 v[134:137], v[26:27], off
	global_load_dwordx4 v[138:141], v[100:101], off offset:1152
	v_mad_u64_u32 v[26:27], s[2:3], s4, v142, 0
	v_mov_b32_e32 v100, v27
	v_mad_u64_u32 v[100:101], s[2:3], s5, v142, v[100:101]
	v_mov_b32_e32 v27, v100
	v_lshl_add_u64 v[24:25], v[26:27], 4, v[24:25]
	global_load_dwordx4 v[24:27], v[24:25], off
	s_waitcnt vmcnt(32)
	v_mul_f64 v[98:99], v[6:7], v[2:3]
	v_mul_f64 v[2:3], v[4:5], v[2:3]
	v_accvgpr_read_b32 v143, a1
	v_fmac_f64_e32 v[98:99], v[4:5], v[0:1]
	v_fma_f64 v[100:101], v[6:7], v[0:1], -v[2:3]
	v_lshl_add_u32 v28, v226, 4, v143
	v_add_u32_e32 v4, v143, v232
	s_waitcnt vmcnt(20)
	v_mul_f64 v[0:1], v[60:61], v[10:11]
	v_mul_f64 v[2:3], v[58:59], v[10:11]
	v_fmac_f64_e32 v[0:1], v[58:59], v[8:9]
	v_fma_f64 v[2:3], v[60:61], v[8:9], -v[2:3]
	ds_write_b128 v28, v[98:101]
	ds_write_b128 v4, v[0:3] offset:896
	s_waitcnt vmcnt(19)
	v_mul_f64 v[0:1], v[64:65], v[14:15]
	v_mul_f64 v[2:3], v[62:63], v[14:15]
	v_fmac_f64_e32 v[0:1], v[62:63], v[12:13]
	v_fma_f64 v[2:3], v[64:65], v[12:13], -v[2:3]
	ds_write_b128 v4, v[0:3] offset:1792
	s_waitcnt vmcnt(18)
	v_mul_f64 v[0:1], v[68:69], v[18:19]
	v_mul_f64 v[2:3], v[66:67], v[18:19]
	v_fmac_f64_e32 v[0:1], v[66:67], v[16:17]
	v_fma_f64 v[2:3], v[68:69], v[16:17], -v[2:3]
	;; [unrolled: 6-line block ×6, first 2 shown]
	ds_write_b128 v4, v[0:3] offset:6272
	v_mul_f64 v[0:1], v[72:73], v[52:53]
	v_mul_f64 v[2:3], v[70:71], v[52:53]
	v_fmac_f64_e32 v[0:1], v[70:71], v[50:51]
	v_fma_f64 v[2:3], v[72:73], v[50:51], -v[2:3]
	ds_write_b128 v4, v[0:3] offset:7168
	s_waitcnt vmcnt(12)
	v_mul_f64 v[0:1], v[92:93], v[48:49]
	v_mul_f64 v[2:3], v[90:91], v[48:49]
	v_fmac_f64_e32 v[0:1], v[90:91], v[46:47]
	v_fma_f64 v[2:3], v[92:93], v[46:47], -v[2:3]
	ds_write_b128 v4, v[0:3] offset:8064
	s_waitcnt vmcnt(11)
	;; [unrolled: 6-line block ×8, first 2 shown]
	v_mul_f64 v[0:1], v[26:27], v[32:33]
	v_mul_f64 v[2:3], v[24:25], v[32:33]
	v_fmac_f64_e32 v[0:1], v[24:25], v[30:31]
	v_fma_f64 v[2:3], v[26:27], v[30:31], -v[2:3]
	ds_write_b128 v4, v[0:3] offset:14336
.LBB0_3:
	s_or_b64 exec, exec, s[14:15]
	s_waitcnt lgkmcnt(0)
	s_barrier
	s_waitcnt lgkmcnt(0)
                                        ; implicit-def: $vgpr4_vgpr5
                                        ; implicit-def: $vgpr8_vgpr9
                                        ; implicit-def: $vgpr16_vgpr17
                                        ; implicit-def: $vgpr24_vgpr25
                                        ; implicit-def: $vgpr36_vgpr37
                                        ; implicit-def: $vgpr44_vgpr45
                                        ; implicit-def: $vgpr52_vgpr53
                                        ; implicit-def: $vgpr64_vgpr65
                                        ; implicit-def: $vgpr72_vgpr73
                                        ; implicit-def: $vgpr60_vgpr61
                                        ; implicit-def: $vgpr56_vgpr57
                                        ; implicit-def: $vgpr48_vgpr49
                                        ; implicit-def: $vgpr40_vgpr41
                                        ; implicit-def: $vgpr32_vgpr33
                                        ; implicit-def: $vgpr28_vgpr29
                                        ; implicit-def: $vgpr20_vgpr21
                                        ; implicit-def: $vgpr12_vgpr13
	s_and_saveexec_b64 s[2:3], vcc
	s_cbranch_execz .LBB0_5
; %bb.4:
	v_lshl_add_u32 v0, v246, 4, v232
	ds_read_b128 v[4:7], v0
	ds_read_b128 v[12:15], v0 offset:896
	ds_read_b128 v[20:23], v0 offset:1792
	ds_read_b128 v[8:11], v0 offset:2688
	ds_read_b128 v[16:19], v0 offset:3584
	ds_read_b128 v[28:31], v0 offset:4480
	ds_read_b128 v[32:35], v0 offset:5376
	ds_read_b128 v[24:27], v0 offset:6272
	ds_read_b128 v[36:39], v0 offset:7168
	ds_read_b128 v[40:43], v0 offset:8064
	ds_read_b128 v[48:51], v0 offset:8960
	ds_read_b128 v[44:47], v0 offset:9856
	ds_read_b128 v[52:55], v0 offset:10752
	ds_read_b128 v[56:59], v0 offset:11648
	ds_read_b128 v[60:63], v0 offset:12544
	ds_read_b128 v[64:67], v0 offset:13440
	ds_read_b128 v[72:75], v0 offset:14336
.LBB0_5:
	s_or_b64 exec, exec, s[2:3]
	s_mov_b32 s26, 0x5d8e7cdc
	s_waitcnt lgkmcnt(0)
	v_add_f64 v[108:109], v[12:13], -v[72:73]
	s_mov_b32 s6, 0x370991
	s_mov_b32 s27, 0xbfd71e95
	v_add_f64 v[134:135], v[74:75], v[14:15]
	s_mov_b32 s7, 0x3fedd6d0
	v_mul_f64 v[96:97], v[108:109], s[26:27]
	v_add_f64 v[104:105], v[14:15], -v[74:75]
	v_fma_f64 v[2:3], v[134:135], s[6:7], -v[96:97]
	s_mov_b32 s28, 0x2a9d6da3
	v_add_f64 v[132:133], v[72:73], v[12:13]
	v_mul_f64 v[92:93], v[104:105], s[26:27]
	v_add_f64 v[68:69], v[6:7], v[2:3]
	s_mov_b32 s18, 0x75d4884
	s_mov_b32 s29, 0xbfe58eea
	v_add_f64 v[2:3], v[22:23], -v[66:67]
	v_fma_f64 v[0:1], s[6:7], v[132:133], v[92:93]
	s_mov_b32 s19, 0x3fe7a5f6
	s_mov_b32 s30, 0x7c9e640b
	v_add_f64 v[140:141], v[64:65], v[20:21]
	v_add_f64 v[110:111], v[20:21], -v[64:65]
	v_mul_f64 v[98:99], v[2:3], s[28:29]
	v_add_f64 v[0:1], v[4:5], v[0:1]
	s_mov_b32 s10, 0x2b2883cd
	s_mov_b32 s31, 0xbfeca52d
	v_add_f64 v[144:145], v[66:67], v[22:23]
	v_mul_f64 v[100:101], v[110:111], s[28:29]
	v_fma_f64 v[70:71], s[18:19], v[140:141], v[98:99]
	v_add_f64 v[106:107], v[10:11], -v[62:63]
	s_mov_b32 s11, 0x3fdc86fa
	s_mov_b32 s36, 0xeb564b22
	v_add_f64 v[0:1], v[70:71], v[0:1]
	v_fma_f64 v[70:71], v[144:145], s[18:19], -v[100:101]
	v_add_f64 v[150:151], v[8:9], v[60:61]
	v_add_f64 v[112:113], v[8:9], -v[60:61]
	v_mul_f64 v[102:103], v[106:107], s[30:31]
	s_mov_b32 s16, 0x3259b75e
	s_mov_b32 s37, 0xbfefdd0d
	v_add_f64 v[68:69], v[70:71], v[68:69]
	v_add_f64 v[152:153], v[10:11], v[62:63]
	v_mul_f64 v[220:221], v[112:113], s[30:31]
	v_fma_f64 v[70:71], s[10:11], v[150:151], v[102:103]
	v_add_f64 v[116:117], v[18:19], -v[58:59]
	s_mov_b32 s17, 0x3fb79ee6
	s_mov_b32 s40, 0x923c349f
	v_add_f64 v[0:1], v[70:71], v[0:1]
	v_fma_f64 v[70:71], v[152:153], s[10:11], -v[220:221]
	v_add_f64 v[158:159], v[16:17], v[56:57]
	v_add_f64 v[114:115], v[16:17], -v[56:57]
	v_mul_f64 v[222:223], v[116:117], s[36:37]
	s_mov_b32 s14, 0xc61f0d01
	s_mov_b32 s41, 0xbfeec746
	v_add_f64 v[68:69], v[70:71], v[68:69]
	;; [unrolled: 14-line block ×4, first 2 shown]
	v_add_f64 v[172:173], v[46:47], v[34:35]
	v_mul_f64 v[240:241], v[238:239], s[34:35]
	v_fma_f64 v[70:71], s[22:23], v[170:171], v[236:237]
	s_mov_b32 s45, 0xbfe0d888
	s_mov_b32 s44, s42
	v_add_f64 v[254:255], v[26:27], -v[50:51]
	s_mov_b32 s25, 0xbfeb34fa
	v_add_f64 v[0:1], v[70:71], v[0:1]
	v_fma_f64 v[70:71], v[172:173], s[22:23], -v[240:241]
	v_add_f64 v[178:179], v[24:25], v[48:49]
	v_add_f64 v[250:251], v[24:25], -v[48:49]
	v_mul_f64 v[242:243], v[254:255], s[44:45]
	s_mov_b32 s38, 0xacd6c6b4
	v_add_f64 v[68:69], v[70:71], v[68:69]
	v_add_f64 v[176:177], v[26:27], v[50:51]
	v_mul_f64 v[76:77], v[250:251], s[44:45]
	v_fma_f64 v[70:71], s[24:25], v[178:179], v[242:243]
	s_mov_b32 s39, 0xbfc7851a
	v_add_f64 v[0:1], v[70:71], v[0:1]
	v_fma_f64 v[70:71], v[176:177], s[24:25], -v[76:77]
	v_add_f64 v[138:139], v[38:39], -v[42:43]
	s_mov_b32 s20, 0x7faef3
	v_add_f64 v[68:69], v[70:71], v[68:69]
	v_mul_f64 v[70:71], v[138:139], s[38:39]
	s_mov_b32 s21, 0xbfef7484
	v_add_f64 v[190:191], v[36:37], v[40:41]
	v_accvgpr_write_b32 a12, v70
	v_accvgpr_write_b32 a13, v71
	v_fma_f64 v[70:71], s[20:21], v[190:191], v[70:71]
	v_add_f64 v[136:137], v[36:37], -v[40:41]
	v_add_f64 v[216:217], v[70:71], v[0:1]
	v_mul_f64 v[0:1], v[136:137], s[38:39]
	v_add_f64 v[196:197], v[38:39], v[42:43]
	v_accvgpr_write_b32 a15, v1
	v_accvgpr_write_b32 a14, v0
	v_fma_f64 v[0:1], v[196:197], s[20:21], -v[0:1]
	v_add_f64 v[218:219], v[0:1], v[68:69]
	v_mul_f64 v[0:1], v[104:105], s[28:29]
	v_accvgpr_write_b32 a17, v1
	v_mul_f64 v[68:69], v[2:3], s[36:37]
	v_accvgpr_write_b32 a16, v0
	v_fma_f64 v[0:1], s[18:19], v[132:133], v[0:1]
	v_accvgpr_write_b32 a18, v68
	v_add_f64 v[0:1], v[4:5], v[0:1]
	v_accvgpr_write_b32 a19, v69
	v_fma_f64 v[68:69], s[16:17], v[140:141], v[68:69]
	v_add_f64 v[0:1], v[68:69], v[0:1]
	v_mul_f64 v[68:69], v[108:109], s[28:29]
	v_accvgpr_write_b32 a24, v68
	v_mul_f64 v[70:71], v[110:111], s[36:37]
	v_accvgpr_write_b32 a25, v69
	v_fma_f64 v[68:69], v[134:135], s[18:19], -v[68:69]
	v_accvgpr_write_b32 a26, v70
	v_add_f64 v[68:69], v[6:7], v[68:69]
	v_accvgpr_write_b32 a27, v71
	v_fma_f64 v[70:71], v[144:145], s[16:17], -v[70:71]
	v_add_f64 v[68:69], v[70:71], v[68:69]
	v_mul_f64 v[70:71], v[106:107], s[34:35]
	v_accvgpr_write_b32 a20, v70
	v_accvgpr_write_b32 a21, v71
	v_fma_f64 v[70:71], s[22:23], v[150:151], v[70:71]
	v_add_f64 v[0:1], v[70:71], v[0:1]
	v_mul_f64 v[70:71], v[112:113], s[34:35]
	v_accvgpr_write_b32 a30, v70
	v_accvgpr_write_b32 a31, v71
	v_fma_f64 v[70:71], v[152:153], s[22:23], -v[70:71]
	v_add_f64 v[68:69], v[70:71], v[68:69]
	v_mul_f64 v[70:71], v[116:117], s[38:39]
	v_accvgpr_write_b32 a22, v70
	v_accvgpr_write_b32 a23, v71
	v_fma_f64 v[70:71], s[20:21], v[158:159], v[70:71]
	v_add_f64 v[0:1], v[70:71], v[0:1]
	v_mul_f64 v[70:71], v[114:115], s[38:39]
	v_accvgpr_write_b32 a34, v70
	;; [unrolled: 10-line block ×3, first 2 shown]
	v_accvgpr_write_b32 a39, v71
	v_fma_f64 v[70:71], v[166:167], s[24:25], -v[70:71]
	s_mov_b32 s47, 0x3feec746
	s_mov_b32 s46, s40
	v_add_f64 v[68:69], v[70:71], v[68:69]
	v_mul_f64 v[70:71], v[244:245], s[46:47]
	v_accvgpr_write_b32 a32, v70
	v_accvgpr_write_b32 a33, v71
	v_fma_f64 v[70:71], s[14:15], v[170:171], v[70:71]
	v_add_f64 v[0:1], v[70:71], v[0:1]
	v_mul_f64 v[70:71], v[238:239], s[46:47]
	v_accvgpr_write_b32 a42, v70
	v_accvgpr_write_b32 a43, v71
	v_fma_f64 v[70:71], v[172:173], s[14:15], -v[70:71]
	s_mov_b32 s49, 0x3feca52d
	s_mov_b32 s48, s30
	v_add_f64 v[68:69], v[70:71], v[68:69]
	v_mul_f64 v[70:71], v[254:255], s[48:49]
	v_accvgpr_write_b32 a36, v70
	v_accvgpr_write_b32 a37, v71
	v_fma_f64 v[70:71], s[10:11], v[178:179], v[70:71]
	v_add_f64 v[0:1], v[70:71], v[0:1]
	v_mul_f64 v[70:71], v[250:251], s[48:49]
	v_accvgpr_write_b32 a44, v70
	;; [unrolled: 12-line block ×3, first 2 shown]
	v_accvgpr_write_b32 a46, v0
	v_fma_f64 v[0:1], v[196:197], s[6:7], -v[0:1]
	v_accvgpr_write_b32 a10, v76
	v_add_f64 v[70:71], v[0:1], v[70:71]
	v_mul_f64 v[0:1], v[104:105], s[30:31]
	v_accvgpr_write_b32 a11, v77
	v_accvgpr_write_b32 a49, v1
	v_mul_f64 v[76:77], v[2:3], s[34:35]
	v_accvgpr_write_b32 a48, v0
	v_fma_f64 v[0:1], s[10:11], v[132:133], v[0:1]
	v_accvgpr_write_b32 a50, v76
	v_add_f64 v[0:1], v[4:5], v[0:1]
	v_accvgpr_write_b32 a51, v77
	v_fma_f64 v[76:77], s[22:23], v[140:141], v[76:77]
	v_add_f64 v[0:1], v[76:77], v[0:1]
	v_mul_f64 v[76:77], v[108:109], s[30:31]
	v_accvgpr_write_b32 a60, v76
	v_mul_f64 v[78:79], v[110:111], s[34:35]
	v_accvgpr_write_b32 a61, v77
	v_fma_f64 v[76:77], v[134:135], s[10:11], -v[76:77]
	v_accvgpr_write_b32 a64, v78
	v_add_f64 v[76:77], v[6:7], v[76:77]
	v_accvgpr_write_b32 a65, v79
	v_fma_f64 v[78:79], v[144:145], s[22:23], -v[78:79]
	s_mov_b32 s53, 0x3fc7851a
	s_mov_b32 s52, s38
	v_add_f64 v[76:77], v[78:79], v[76:77]
	v_mul_f64 v[78:79], v[106:107], s[52:53]
	v_accvgpr_write_b32 a52, v78
	v_accvgpr_write_b32 a53, v79
	v_fma_f64 v[78:79], s[20:21], v[150:151], v[78:79]
	v_add_f64 v[0:1], v[78:79], v[0:1]
	v_mul_f64 v[78:79], v[112:113], s[52:53]
	v_accvgpr_write_b32 a68, v78
	v_accvgpr_write_b32 a69, v79
	v_fma_f64 v[78:79], v[152:153], s[20:21], -v[78:79]
	v_add_f64 v[76:77], v[78:79], v[76:77]
	v_mul_f64 v[78:79], v[116:117], s[46:47]
	v_accvgpr_write_b32 a54, v78
	v_accvgpr_write_b32 a55, v79
	v_fma_f64 v[78:79], s[14:15], v[158:159], v[78:79]
	v_add_f64 v[0:1], v[78:79], v[0:1]
	v_mul_f64 v[78:79], v[114:115], s[46:47]
	v_accvgpr_write_b32 a70, v78
	v_accvgpr_write_b32 a71, v79
	v_fma_f64 v[78:79], v[160:161], s[14:15], -v[78:79]
	s_mov_b32 s55, 0x3fe58eea
	s_mov_b32 s54, s28
	v_add_f64 v[76:77], v[78:79], v[76:77]
	v_mul_f64 v[78:79], v[228:229], s[54:55]
	v_accvgpr_write_b32 a56, v78
	v_accvgpr_write_b32 a57, v79
	v_fma_f64 v[78:79], s[18:19], v[164:165], v[78:79]
	v_mul_f64 v[248:249], v[118:119], s[54:55]
	v_add_f64 v[0:1], v[78:79], v[0:1]
	v_fma_f64 v[78:79], v[166:167], s[18:19], -v[248:249]
	v_add_f64 v[76:77], v[78:79], v[76:77]
	v_mul_f64 v[78:79], v[244:245], s[26:27]
	v_accvgpr_write_b32 a58, v78
	v_accvgpr_write_b32 a59, v79
	v_fma_f64 v[78:79], s[6:7], v[170:171], v[78:79]
	v_add_f64 v[0:1], v[78:79], v[0:1]
	v_mul_f64 v[78:79], v[238:239], s[26:27]
	v_accvgpr_write_b32 a76, v78
	v_accvgpr_write_b32 a77, v79
	v_fma_f64 v[78:79], v[172:173], s[6:7], -v[78:79]
	v_add_f64 v[76:77], v[78:79], v[76:77]
	v_mul_f64 v[78:79], v[254:255], s[36:37]
	v_accvgpr_write_b32 a62, v78
	v_accvgpr_write_b32 a63, v79
	v_fma_f64 v[78:79], s[16:17], v[178:179], v[78:79]
	v_mul_f64 v[120:121], v[250:251], s[36:37]
	v_add_f64 v[0:1], v[78:79], v[0:1]
	v_fma_f64 v[78:79], v[176:177], s[16:17], -v[120:121]
	v_add_f64 v[76:77], v[78:79], v[76:77]
	v_mul_f64 v[78:79], v[138:139], s[44:45]
	v_accvgpr_write_b32 a66, v78
	v_accvgpr_write_b32 a67, v79
	v_fma_f64 v[78:79], s[24:25], v[190:191], v[78:79]
	v_mul_f64 v[122:123], v[136:137], s[44:45]
	v_add_f64 v[80:81], v[78:79], v[0:1]
	v_fma_f64 v[0:1], v[196:197], s[24:25], -v[122:123]
	v_mul_f64 v[214:215], v[104:105], s[36:37]
	v_add_f64 v[82:83], v[0:1], v[76:77]
	v_fma_f64 v[0:1], s[16:17], v[132:133], v[214:215]
	v_mul_f64 v[252:253], v[2:3], s[38:39]
	v_add_f64 v[0:1], v[4:5], v[0:1]
	v_fma_f64 v[76:77], s[20:21], v[140:141], v[252:253]
	v_mul_f64 v[128:129], v[108:109], s[36:37]
	v_add_f64 v[0:1], v[76:77], v[0:1]
	v_fma_f64 v[76:77], v[134:135], s[16:17], -v[128:129]
	v_mul_f64 v[142:143], v[110:111], s[38:39]
	v_add_f64 v[76:77], v[6:7], v[76:77]
	v_fma_f64 v[78:79], v[144:145], s[20:21], -v[142:143]
	v_mul_f64 v[124:125], v[106:107], s[46:47]
	v_add_f64 v[76:77], v[78:79], v[76:77]
	v_fma_f64 v[78:79], s[14:15], v[150:151], v[124:125]
	v_mul_f64 v[148:149], v[112:113], s[46:47]
	v_add_f64 v[0:1], v[78:79], v[0:1]
	v_fma_f64 v[78:79], v[152:153], s[14:15], -v[148:149]
	v_mul_f64 v[126:127], v[116:117], s[50:51]
	v_add_f64 v[76:77], v[78:79], v[76:77]
	v_fma_f64 v[78:79], s[6:7], v[158:159], v[126:127]
	;; [unrolled: 6-line block ×4, first 2 shown]
	v_mul_f64 v[174:175], v[238:239], s[44:45]
	s_mov_b32 s59, 0x3fe9895b
	s_mov_b32 s58, s34
	v_add_f64 v[0:1], v[78:79], v[0:1]
	v_fma_f64 v[78:79], v[172:173], s[24:25], -v[174:175]
	v_mul_f64 v[154:155], v[254:255], s[58:59]
	v_add_f64 v[76:77], v[78:79], v[76:77]
	v_fma_f64 v[78:79], s[22:23], v[178:179], v[154:155]
	v_mul_f64 v[180:181], v[250:251], s[58:59]
	v_add_f64 v[0:1], v[78:79], v[0:1]
	v_fma_f64 v[78:79], v[176:177], s[22:23], -v[180:181]
	v_mul_f64 v[162:163], v[138:139], s[54:55]
	v_add_f64 v[76:77], v[78:79], v[76:77]
	v_fma_f64 v[78:79], s[18:19], v[190:191], v[162:163]
	v_mul_f64 v[182:183], v[136:137], s[54:55]
	;; [unrolled: 6-line block ×3, first 2 shown]
	v_add_f64 v[0:1], v[4:5], v[0:1]
	v_fma_f64 v[76:77], s[24:25], v[140:141], v[186:187]
	v_mul_f64 v[194:195], v[108:109], s[40:41]
	v_add_f64 v[0:1], v[76:77], v[0:1]
	v_fma_f64 v[76:77], v[134:135], s[14:15], -v[194:195]
	v_mul_f64 v[200:201], v[110:111], s[42:43]
	v_add_f64 v[76:77], v[6:7], v[76:77]
	v_fma_f64 v[78:79], v[144:145], s[24:25], -v[200:201]
	v_mul_f64 v[188:189], v[106:107], s[54:55]
	v_add_f64 v[76:77], v[78:79], v[76:77]
	v_fma_f64 v[78:79], s[18:19], v[150:151], v[188:189]
	v_mul_f64 v[204:205], v[112:113], s[54:55]
	v_add_f64 v[0:1], v[78:79], v[0:1]
	v_fma_f64 v[78:79], v[152:153], s[18:19], -v[204:205]
	v_mul_f64 v[192:193], v[116:117], s[30:31]
	v_add_f64 v[76:77], v[78:79], v[76:77]
	v_fma_f64 v[78:79], s[10:11], v[158:159], v[192:193]
	;; [unrolled: 6-line block ×3, first 2 shown]
	v_mul_f64 v[208:209], v[118:119], s[38:39]
	s_mov_b32 s57, 0x3fefdd0d
	s_mov_b32 s56, s36
	v_add_f64 v[0:1], v[78:79], v[0:1]
	v_fma_f64 v[78:79], v[166:167], s[20:21], -v[208:209]
	v_mul_f64 v[202:203], v[244:245], s[56:57]
	v_add_f64 v[76:77], v[78:79], v[76:77]
	v_fma_f64 v[78:79], s[16:17], v[170:171], v[202:203]
	v_mul_f64 v[210:211], v[238:239], s[56:57]
	v_add_f64 v[0:1], v[78:79], v[0:1]
	v_fma_f64 v[78:79], v[172:173], s[16:17], -v[210:211]
	v_mul_f64 v[88:89], v[254:255], s[26:27]
	v_add_f64 v[76:77], v[78:79], v[76:77]
	v_fma_f64 v[78:79], s[6:7], v[178:179], v[88:89]
	v_add_f64 v[78:79], v[78:79], v[0:1]
	v_mul_f64 v[0:1], v[250:251], s[26:27]
	s_load_dwordx2 s[4:5], s[0:1], 0x20
	s_load_dwordx2 s[2:3], s[0:1], 0x8
	v_fma_f64 v[94:95], v[176:177], s[6:7], -v[0:1]
	v_mul_f64 v[206:207], v[138:139], s[34:35]
	v_add_f64 v[94:95], v[94:95], v[76:77]
	v_fma_f64 v[76:77], s[22:23], v[190:191], v[206:207]
	v_mul_f64 v[212:213], v[136:137], s[34:35]
	v_add_f64 v[76:77], v[76:77], v[78:79]
	v_fma_f64 v[78:79], v[196:197], s[22:23], -v[212:213]
	v_add_f64 v[78:79], v[78:79], v[94:95]
	s_waitcnt lgkmcnt(0)
	s_barrier
	s_and_saveexec_b64 s[0:1], vcc
	s_cbranch_execz .LBB0_7
; %bb.6:
	v_mul_f64 v[94:95], v[134:135], s[20:21]
	v_accvgpr_write_b32 a84, v96
	v_accvgpr_write_b32 a78, v98
	v_accvgpr_write_b32 a85, v97
	v_fma_f64 v[96:97], s[52:53], v[108:109], v[94:95]
	v_accvgpr_write_b32 a79, v99
	v_mul_f64 v[98:99], v[144:145], s[6:7]
	v_accvgpr_write_b32 a86, v100
	v_add_f64 v[96:97], v[6:7], v[96:97]
	v_accvgpr_write_b32 a87, v101
	v_fma_f64 v[100:101], s[26:27], v[110:111], v[98:99]
	v_add_f64 v[96:97], v[100:101], v[96:97]
	v_mul_f64 v[100:101], v[152:153], s[24:25]
	v_accvgpr_write_b32 a80, v102
	v_accvgpr_write_b32 a81, v103
	v_fma_f64 v[102:103], s[42:43], v[112:113], v[100:101]
	v_add_f64 v[96:97], v[102:103], v[96:97]
	v_mul_f64 v[102:103], v[160:161], s[18:19]
	v_accvgpr_write_b32 a82, v92
	;; [unrolled: 5-line block ×3, first 2 shown]
	v_accvgpr_write_b32 a7, v217
	v_accvgpr_write_b32 a8, v218
	v_accvgpr_write_b32 a9, v219
	v_fma_f64 v[216:217], s[58:59], v[118:119], v[96:97]
	v_add_f64 v[92:93], v[216:217], v[92:93]
	v_mul_f64 v[216:217], v[172:173], s[10:11]
	v_fma_f64 v[218:219], s[30:31], v[238:239], v[216:217]
	v_add_f64 v[92:93], v[218:219], v[92:93]
	v_mul_f64 v[218:219], v[176:177], s[14:15]
	v_accvgpr_write_b32 a92, v220
	v_accvgpr_write_b32 a93, v221
	v_fma_f64 v[220:221], s[46:47], v[250:251], v[218:219]
	v_add_f64 v[92:93], v[220:221], v[92:93]
	v_mul_f64 v[220:221], v[104:105], s[38:39]
	v_accvgpr_write_b32 a94, v222
	v_accvgpr_write_b32 a100, v224
	;; [unrolled: 1-line block ×3, first 2 shown]
	v_fma_f64 v[222:223], s[20:21], v[132:133], v[220:221]
	v_accvgpr_write_b32 a101, v225
	v_mul_f64 v[224:225], v[2:3], s[50:51]
	v_add_f64 v[222:223], v[4:5], v[222:223]
	v_accvgpr_write_b32 a0, v226
	v_fma_f64 v[226:227], s[6:7], v[140:141], v[224:225]
	v_add_f64 v[222:223], v[226:227], v[222:223]
	v_mul_f64 v[226:227], v[106:107], s[44:45]
	v_accvgpr_write_b32 a96, v230
	v_accvgpr_write_b32 a97, v231
	v_fma_f64 v[230:231], s[24:25], v[150:151], v[226:227]
	v_add_f64 v[222:223], v[230:231], v[222:223]
	v_mul_f64 v[230:231], v[116:117], s[54:55]
	v_fmac_f64_e32 v[94:95], s[38:39], v[108:109]
	v_accvgpr_write_b32 a2, v232
	v_fma_f64 v[232:233], s[18:19], v[158:159], v[230:231]
	v_fmac_f64_e32 v[98:99], s[50:51], v[110:111]
	v_add_f64 v[94:95], v[6:7], v[94:95]
	v_add_f64 v[222:223], v[232:233], v[222:223]
	v_mul_f64 v[232:233], v[228:229], s[34:35]
	v_accvgpr_write_b32 a104, v234
	v_add_f64 v[94:95], v[98:99], v[94:95]
	v_fmac_f64_e32 v[100:101], s[44:45], v[112:113]
	v_accvgpr_write_b32 a105, v235
	v_fma_f64 v[234:235], s[22:23], v[164:165], v[232:233]
	v_add_f64 v[94:95], v[100:101], v[94:95]
	v_fmac_f64_e32 v[102:103], s[54:55], v[114:115]
	v_add_f64 v[222:223], v[234:235], v[222:223]
	v_mul_f64 v[234:235], v[244:245], s[48:49]
	v_accvgpr_write_b32 a98, v236
	v_add_f64 v[94:95], v[102:103], v[94:95]
	v_fmac_f64_e32 v[96:97], s[34:35], v[118:119]
	v_fma_f64 v[98:99], v[132:133], s[20:21], -v[220:221]
	v_accvgpr_write_b32 a99, v237
	v_fma_f64 v[236:237], s[10:11], v[170:171], v[234:235]
	v_add_f64 v[94:95], v[96:97], v[94:95]
	v_fma_f64 v[96:97], v[140:141], s[6:7], -v[224:225]
	v_add_f64 v[98:99], v[4:5], v[98:99]
	v_add_f64 v[222:223], v[236:237], v[222:223]
	v_mul_f64 v[236:237], v[254:255], s[40:41]
	v_accvgpr_write_b32 a106, v240
	v_add_f64 v[96:97], v[96:97], v[98:99]
	v_fma_f64 v[98:99], v[150:151], s[24:25], -v[226:227]
	v_accvgpr_write_b32 a107, v241
	v_fma_f64 v[240:241], s[14:15], v[178:179], v[236:237]
	v_add_f64 v[96:97], v[98:99], v[96:97]
	v_fma_f64 v[98:99], v[158:159], s[18:19], -v[230:231]
	v_add_f64 v[222:223], v[240:241], v[222:223]
	v_mul_f64 v[240:241], v[196:197], s[16:17]
	v_accvgpr_write_b32 a102, v242
	v_add_f64 v[96:97], v[98:99], v[96:97]
	v_fma_f64 v[98:99], v[164:165], s[22:23], -v[232:233]
	v_accvgpr_write_b32 a103, v243
	v_fma_f64 v[242:243], s[36:37], v[136:137], v[240:241]
	v_accvgpr_write_b32 a112, v248
	v_add_f64 v[96:97], v[98:99], v[96:97]
	v_fma_f64 v[98:99], v[170:171], s[10:11], -v[234:235]
	v_accvgpr_write_b32 a113, v249
	v_add_f64 v[248:249], v[242:243], v[92:93]
	v_mul_f64 v[92:93], v[138:139], s[56:57]
	v_fmac_f64_e32 v[216:217], s[48:49], v[238:239]
	v_add_f64 v[96:97], v[98:99], v[96:97]
	v_fma_f64 v[98:99], v[178:179], s[14:15], -v[236:237]
	v_fma_f64 v[242:243], s[16:17], v[190:191], v[92:93]
	v_add_f64 v[94:95], v[216:217], v[94:95]
	v_fmac_f64_e32 v[218:219], s[40:41], v[250:251]
	v_add_f64 v[96:97], v[98:99], v[96:97]
	v_fma_f64 v[92:93], v[190:191], s[16:17], -v[92:93]
	v_add_f64 v[94:95], v[218:219], v[94:95]
	v_fmac_f64_e32 v[240:241], s[56:57], v[136:137]
	v_add_f64 v[92:93], v[92:93], v[96:97]
	v_add_f64 v[94:95], v[240:241], v[94:95]
	v_accvgpr_write_b32 a88, v92
	v_accvgpr_write_b32 a89, v93
	;; [unrolled: 1-line block ×4, first 2 shown]
	v_mul_f64 v[92:93], v[134:135], s[24:25]
	v_fma_f64 v[94:95], s[42:43], v[108:109], v[92:93]
	v_mul_f64 v[100:101], v[144:145], s[10:11]
	v_add_f64 v[94:95], v[6:7], v[94:95]
	v_fma_f64 v[96:97], s[30:31], v[110:111], v[100:101]
	v_mul_f64 v[102:103], v[152:153], s[16:17]
	v_add_f64 v[94:95], v[96:97], v[94:95]
	;; [unrolled: 3-line block ×4, first 2 shown]
	v_fma_f64 v[96:97], s[50:51], v[118:119], v[218:219]
	v_mul_f64 v[220:221], v[172:173], s[20:21]
	v_accvgpr_write_b32 a3, v246
	v_add_f64 v[246:247], v[242:243], v[222:223]
	v_add_f64 v[94:95], v[96:97], v[94:95]
	v_fma_f64 v[96:97], s[52:53], v[238:239], v[220:221]
	v_mul_f64 v[222:223], v[176:177], s[18:19]
	v_add_f64 v[94:95], v[96:97], v[94:95]
	v_fma_f64 v[96:97], s[28:29], v[250:251], v[222:223]
	v_mul_f64 v[224:225], v[104:105], s[44:45]
	;; [unrolled: 3-line block ×9, first 2 shown]
	v_add_f64 v[96:97], v[98:99], v[96:97]
	v_fma_f64 v[98:99], s[46:47], v[136:137], v[242:243]
	v_accvgpr_write_b32 a114, v122
	v_accvgpr_write_b32 a115, v123
	v_add_f64 v[122:123], v[98:99], v[94:95]
	v_mul_f64 v[94:95], v[138:139], s[40:41]
	v_accvgpr_write_b32 a72, v246
	v_fma_f64 v[98:99], s[14:15], v[190:191], v[94:95]
	v_fmac_f64_e32 v[92:93], s[44:45], v[108:109]
	v_accvgpr_write_b32 a73, v247
	v_accvgpr_write_b32 a74, v248
	;; [unrolled: 1-line block ×3, first 2 shown]
	v_mov_b64_e32 v[248:249], v[120:121]
	v_add_f64 v[120:121], v[98:99], v[96:97]
	v_fmac_f64_e32 v[100:101], s[48:49], v[110:111]
	v_add_f64 v[92:93], v[6:7], v[92:93]
	v_fma_f64 v[98:99], v[132:133], s[24:25], -v[224:225]
	v_add_f64 v[92:93], v[100:101], v[92:93]
	v_fmac_f64_e32 v[102:103], s[36:37], v[112:113]
	v_fma_f64 v[96:97], v[140:141], s[10:11], -v[226:227]
	v_add_f64 v[98:99], v[4:5], v[98:99]
	v_add_f64 v[92:93], v[102:103], v[92:93]
	v_fmac_f64_e32 v[216:217], s[58:59], v[114:115]
	v_add_f64 v[96:97], v[96:97], v[98:99]
	v_fma_f64 v[98:99], v[150:151], s[16:17], -v[230:231]
	v_add_f64 v[92:93], v[216:217], v[92:93]
	v_fmac_f64_e32 v[218:219], s[26:27], v[118:119]
	v_add_f64 v[96:97], v[98:99], v[96:97]
	v_fma_f64 v[98:99], v[158:159], s[22:23], -v[232:233]
	;; [unrolled: 4-line block ×4, first 2 shown]
	v_add_f64 v[92:93], v[222:223], v[92:93]
	v_add_f64 v[96:97], v[98:99], v[96:97]
	v_fma_f64 v[98:99], v[178:179], s[18:19], -v[240:241]
	v_fmac_f64_e32 v[242:243], s[40:41], v[136:137]
	v_add_f64 v[96:97], v[98:99], v[96:97]
	v_add_f64 v[102:103], v[242:243], v[92:93]
	v_fma_f64 v[92:93], v[190:191], s[14:15], -v[94:95]
	v_add_f64 v[100:101], v[92:93], v[96:97]
	v_mul_f64 v[92:93], v[134:135], s[22:23]
	v_fma_f64 v[94:95], s[58:59], v[108:109], v[92:93]
	v_mul_f64 v[96:97], v[144:145], s[14:15]
	v_add_f64 v[94:95], v[6:7], v[94:95]
	v_fma_f64 v[98:99], s[40:41], v[110:111], v[96:97]
	v_add_f64 v[94:95], v[98:99], v[94:95]
	v_mul_f64 v[98:99], v[152:153], s[6:7]
	v_fma_f64 v[216:217], s[50:51], v[112:113], v[98:99]
	v_add_f64 v[94:95], v[216:217], v[94:95]
	v_mul_f64 v[216:217], v[160:161], s[24:25]
	;; [unrolled: 3-line block ×6, first 2 shown]
	v_fmac_f64_e32 v[92:93], s[34:35], v[108:109]
	v_mul_f64 v[2:3], v[2:3], s[46:47]
	v_fma_f64 v[104:105], s[22:23], v[132:133], v[224:225]
	v_fmac_f64_e32 v[96:97], s[46:47], v[110:111]
	v_add_f64 v[92:93], v[6:7], v[92:93]
	v_add_f64 v[104:105], v[4:5], v[104:105]
	v_fma_f64 v[226:227], s[14:15], v[140:141], v[2:3]
	v_add_f64 v[92:93], v[96:97], v[92:93]
	v_fma_f64 v[96:97], v[132:133], s[22:23], -v[224:225]
	v_add_f64 v[104:105], v[226:227], v[104:105]
	v_mul_f64 v[226:227], v[106:107], s[26:27]
	v_fma_f64 v[2:3], v[140:141], s[14:15], -v[2:3]
	v_add_f64 v[96:97], v[4:5], v[96:97]
	v_fma_f64 v[106:107], s[6:7], v[150:151], v[226:227]
	v_mul_f64 v[116:117], v[116:117], s[44:45]
	v_add_f64 v[2:3], v[2:3], v[96:97]
	v_fma_f64 v[96:97], v[150:151], s[6:7], -v[226:227]
	v_add_f64 v[104:105], v[106:107], v[104:105]
	v_fma_f64 v[106:107], s[24:25], v[158:159], v[116:117]
	v_mul_f64 v[228:229], v[228:229], s[56:57]
	v_fmac_f64_e32 v[98:99], s[26:27], v[112:113]
	v_add_f64 v[2:3], v[96:97], v[2:3]
	v_fma_f64 v[96:97], v[158:159], s[24:25], -v[116:117]
	v_add_f64 v[104:105], v[106:107], v[104:105]
	v_fma_f64 v[106:107], s[16:17], v[164:165], v[228:229]
	v_mul_f64 v[230:231], v[244:245], s[28:29]
	v_fmac_f64_e32 v[216:217], s[44:45], v[114:115]
	v_add_f64 v[92:93], v[98:99], v[92:93]
	v_add_f64 v[2:3], v[96:97], v[2:3]
	v_fma_f64 v[96:97], v[164:165], s[16:17], -v[228:229]
	v_add_f64 v[104:105], v[106:107], v[104:105]
	v_fma_f64 v[106:107], s[18:19], v[170:171], v[230:231]
	v_mul_f64 v[232:233], v[254:255], s[38:39]
	v_fmac_f64_e32 v[218:219], s[56:57], v[118:119]
	v_add_f64 v[92:93], v[216:217], v[92:93]
	v_add_f64 v[2:3], v[96:97], v[2:3]
	v_fma_f64 v[96:97], v[170:171], s[18:19], -v[230:231]
	v_add_f64 v[104:105], v[106:107], v[104:105]
	v_fma_f64 v[106:107], s[20:21], v[178:179], v[232:233]
	v_mul_f64 v[234:235], v[196:197], s[10:11]
	v_fmac_f64_e32 v[220:221], s[28:29], v[238:239]
	v_add_f64 v[92:93], v[218:219], v[92:93]
	v_add_f64 v[2:3], v[96:97], v[2:3]
	v_fma_f64 v[96:97], v[178:179], s[20:21], -v[232:233]
	v_mul_f64 v[112:113], v[134:135], s[14:15]
	v_add_f64 v[104:105], v[106:107], v[104:105]
	v_fma_f64 v[106:107], s[30:31], v[136:137], v[234:235]
	v_fmac_f64_e32 v[222:223], s[38:39], v[250:251]
	v_add_f64 v[92:93], v[220:221], v[92:93]
	v_add_f64 v[2:3], v[96:97], v[2:3]
	v_mul_f64 v[96:97], v[160:161], s[10:11]
	v_mul_f64 v[98:99], v[144:145], s[24:25]
	v_add_f64 v[112:113], v[194:195], v[112:113]
	v_add_f64 v[106:107], v[106:107], v[94:95]
	v_mul_f64 v[94:95], v[138:139], s[48:49]
	v_fmac_f64_e32 v[234:235], s[48:49], v[136:137]
	v_add_f64 v[92:93], v[222:223], v[92:93]
	v_add_f64 v[90:91], v[90:91], v[96:97]
	v_mul_f64 v[96:97], v[152:153], s[18:19]
	v_add_f64 v[98:99], v[200:201], v[98:99]
	v_add_f64 v[112:113], v[6:7], v[112:113]
	;; [unrolled: 1-line block ×3, first 2 shown]
	v_fma_f64 v[92:93], v[190:191], s[10:11], -v[94:95]
	v_add_f64 v[96:97], v[204:205], v[96:97]
	v_add_f64 v[98:99], v[98:99], v[112:113]
	v_mul_f64 v[114:115], v[132:133], s[14:15]
	v_fma_f64 v[138:139], s[10:11], v[190:191], v[94:95]
	v_add_f64 v[108:109], v[92:93], v[2:3]
	v_mul_f64 v[92:93], v[176:177], s[6:7]
	v_mul_f64 v[94:95], v[166:167], s[20:21]
	v_add_f64 v[96:97], v[96:97], v[98:99]
	v_mul_f64 v[112:113], v[140:141], s[24:25]
	v_add_f64 v[114:115], v[114:115], -v[184:185]
	v_add_f64 v[0:1], v[0:1], v[92:93]
	v_mul_f64 v[92:93], v[172:173], s[16:17]
	v_add_f64 v[94:95], v[208:209], v[94:95]
	v_add_f64 v[90:91], v[90:91], v[96:97]
	v_mul_f64 v[98:99], v[150:151], s[18:19]
	v_add_f64 v[112:113], v[112:113], -v[186:187]
	v_add_f64 v[114:115], v[4:5], v[114:115]
	v_add_f64 v[92:93], v[210:211], v[92:93]
	;; [unrolled: 1-line block ×3, first 2 shown]
	v_mul_f64 v[96:97], v[158:159], s[10:11]
	v_add_f64 v[98:99], v[98:99], -v[188:189]
	v_add_f64 v[112:113], v[112:113], v[114:115]
	v_add_f64 v[90:91], v[92:93], v[90:91]
	v_mul_f64 v[92:93], v[178:179], s[6:7]
	v_mul_f64 v[94:95], v[164:165], s[20:21]
	v_add_f64 v[96:97], v[96:97], -v[192:193]
	v_add_f64 v[98:99], v[98:99], v[112:113]
	v_add_f64 v[88:89], v[92:93], -v[88:89]
	v_mul_f64 v[92:93], v[170:171], s[16:17]
	v_add_f64 v[94:95], v[94:95], -v[198:199]
	v_add_f64 v[96:97], v[96:97], v[98:99]
	v_mul_f64 v[98:99], v[134:135], s[16:17]
	v_add_f64 v[92:93], v[92:93], -v[202:203]
	v_add_f64 v[94:95], v[94:95], v[96:97]
	v_mul_f64 v[96:97], v[144:145], s[20:21]
	v_add_f64 v[98:99], v[128:129], v[98:99]
	v_mul_f64 v[118:119], v[132:133], s[16:17]
	;; [unrolled: 2-line block ×4, first 2 shown]
	v_add_f64 v[96:97], v[142:143], v[96:97]
	v_add_f64 v[98:99], v[6:7], v[98:99]
	v_mul_f64 v[116:117], v[140:141], s[20:21]
	v_add_f64 v[118:119], v[118:119], -v[214:215]
	v_add_f64 v[90:91], v[90:91], -v[206:207]
	v_add_f64 v[88:89], v[88:89], v[92:93]
	v_mul_f64 v[92:93], v[160:161], s[6:7]
	v_add_f64 v[94:95], v[148:149], v[94:95]
	v_add_f64 v[96:97], v[96:97], v[98:99]
	v_mul_f64 v[98:99], v[150:151], s[14:15]
	v_add_f64 v[116:117], v[116:117], -v[252:253]
	v_add_f64 v[118:119], v[4:5], v[118:119]
	v_mul_f64 v[2:3], v[196:197], s[22:23]
	v_add_f64 v[112:113], v[90:91], v[88:89]
	v_mul_f64 v[90:91], v[166:167], s[10:11]
	v_add_f64 v[92:93], v[156:157], v[92:93]
	v_add_f64 v[94:95], v[94:95], v[96:97]
	v_mul_f64 v[96:97], v[158:159], s[6:7]
	v_add_f64 v[98:99], v[98:99], -v[124:125]
	v_add_f64 v[116:117], v[116:117], v[118:119]
	v_add_f64 v[2:3], v[212:213], v[2:3]
	v_mul_f64 v[88:89], v[172:173], s[24:25]
	v_add_f64 v[90:91], v[168:169], v[90:91]
	v_add_f64 v[92:93], v[92:93], v[94:95]
	v_mul_f64 v[94:95], v[164:165], s[10:11]
	v_add_f64 v[96:97], v[96:97], -v[126:127]
	v_add_f64 v[98:99], v[98:99], v[116:117]
	;; [unrolled: 7-line block ×3, first 2 shown]
	v_add_f64 v[2:3], v[180:181], v[2:3]
	v_add_f64 v[88:89], v[88:89], v[90:91]
	v_mul_f64 v[90:91], v[178:179], s[22:23]
	v_add_f64 v[92:93], v[92:93], -v[146:147]
	v_add_f64 v[94:95], v[94:95], v[96:97]
	v_add_f64 v[2:3], v[2:3], v[88:89]
	v_mul_f64 v[88:89], v[190:191], s[18:19]
	v_add_f64 v[90:91], v[90:91], -v[154:155]
	v_add_f64 v[92:93], v[92:93], v[94:95]
	v_add_f64 v[88:89], v[88:89], -v[162:163]
	v_add_f64 v[90:91], v[90:91], v[92:93]
	v_add_f64 v[116:117], v[88:89], v[90:91]
	v_accvgpr_read_b32 v91, a77
	v_mul_f64 v[88:89], v[172:173], s[6:7]
	v_accvgpr_read_b32 v90, a76
	v_accvgpr_read_b32 v92, a112
	v_add_f64 v[88:89], v[90:91], v[88:89]
	v_mul_f64 v[90:91], v[166:167], s[18:19]
	v_accvgpr_read_b32 v93, a113
	v_accvgpr_read_b32 v95, a71
	v_add_f64 v[90:91], v[92:93], v[90:91]
	v_mul_f64 v[92:93], v[160:161], s[14:15]
	v_accvgpr_read_b32 v94, a70
	v_accvgpr_read_b32 v97, a69
	v_accvgpr_write_b32 a108, v120
	v_add_f64 v[92:93], v[94:95], v[92:93]
	v_mul_f64 v[94:95], v[152:153], s[20:21]
	v_accvgpr_read_b32 v96, a68
	v_accvgpr_read_b32 v99, a65
	v_accvgpr_write_b32 a109, v121
	v_accvgpr_write_b32 a110, v122
	;; [unrolled: 1-line block ×3, first 2 shown]
	v_add_f64 v[94:95], v[96:97], v[94:95]
	v_mul_f64 v[96:97], v[144:145], s[22:23]
	v_accvgpr_read_b32 v98, a64
	v_accvgpr_read_b32 v121, a61
	v_add_f64 v[96:97], v[98:99], v[96:97]
	v_mul_f64 v[98:99], v[134:135], s[10:11]
	v_accvgpr_read_b32 v120, a60
	v_add_f64 v[98:99], v[120:121], v[98:99]
	v_mul_f64 v[0:1], v[196:197], s[18:19]
	v_add_f64 v[98:99], v[6:7], v[98:99]
	v_add_f64 v[0:1], v[182:183], v[0:1]
	v_add_f64 v[96:97], v[96:97], v[98:99]
	v_add_f64 v[118:119], v[0:1], v[2:3]
	v_accvgpr_read_b32 v2, a114
	v_add_f64 v[94:95], v[94:95], v[96:97]
	v_mul_f64 v[0:1], v[196:197], s[24:25]
	v_accvgpr_read_b32 v3, a115
	v_add_f64 v[92:93], v[92:93], v[94:95]
	v_add_f64 v[0:1], v[2:3], v[0:1]
	v_mul_f64 v[2:3], v[176:177], s[16:17]
	v_add_f64 v[90:91], v[90:91], v[92:93]
	v_add_f64 v[2:3], v[248:249], v[2:3]
	;; [unrolled: 1-line block ×3, first 2 shown]
	v_accvgpr_read_b32 v91, a67
	v_add_f64 v[2:3], v[2:3], v[88:89]
	v_mul_f64 v[88:89], v[190:191], s[24:25]
	v_accvgpr_read_b32 v90, a66
	v_accvgpr_read_b32 v127, a63
	v_add_f64 v[88:89], v[88:89], -v[90:91]
	v_mul_f64 v[90:91], v[178:179], s[16:17]
	v_accvgpr_read_b32 v126, a62
	v_accvgpr_read_b32 v129, a59
	v_add_f64 v[90:91], v[90:91], -v[126:127]
	v_mul_f64 v[126:127], v[170:171], s[6:7]
	v_accvgpr_read_b32 v128, a58
	v_accvgpr_read_b32 v131, a57
	v_mul_f64 v[98:99], v[132:133], s[6:7]
	v_mul_f64 v[94:95], v[132:133], s[18:19]
	v_mul_f64 v[122:123], v[132:133], s[10:11]
	v_add_f64 v[126:127], v[126:127], -v[128:129]
	v_mul_f64 v[128:129], v[164:165], s[18:19]
	v_accvgpr_read_b32 v130, a56
	v_accvgpr_read_b32 v133, a55
	v_mul_f64 v[96:97], v[134:135], s[6:7]
	v_mul_f64 v[120:121], v[134:135], s[18:19]
	v_add_f64 v[128:129], v[128:129], -v[130:131]
	v_mul_f64 v[130:131], v[158:159], s[14:15]
	v_accvgpr_read_b32 v132, a54
	v_accvgpr_read_b32 v135, a53
	v_add_f64 v[130:131], v[130:131], -v[132:133]
	v_mul_f64 v[132:133], v[150:151], s[20:21]
	v_accvgpr_read_b32 v134, a52
	v_accvgpr_read_b32 v143, a49
	v_add_f64 v[104:105], v[138:139], v[104:105]
	v_mul_f64 v[92:93], v[140:141], s[18:19]
	v_add_f64 v[132:133], v[132:133], -v[134:135]
	v_mul_f64 v[134:135], v[140:141], s[16:17]
	v_mul_f64 v[138:139], v[140:141], s[22:23]
	v_accvgpr_read_b32 v141, a51
	v_accvgpr_read_b32 v142, a48
	;; [unrolled: 1-line block ×3, first 2 shown]
	v_add_f64 v[122:123], v[122:123], -v[142:143]
	v_add_f64 v[138:139], v[138:139], -v[140:141]
	v_add_f64 v[122:123], v[4:5], v[122:123]
	v_add_f64 v[122:123], v[138:139], v[122:123]
	;; [unrolled: 1-line block ×6, first 2 shown]
	v_mul_f64 v[138:139], v[158:159], s[16:17]
	v_mul_f64 v[148:149], v[158:159], s[20:21]
	v_add_f64 v[90:91], v[90:91], v[122:123]
	v_mul_f64 v[122:123], v[172:173], s[22:23]
	v_mul_f64 v[158:159], v[172:173], s[14:15]
	v_accvgpr_read_b32 v173, a43
	v_accvgpr_read_b32 v172, a42
	v_add_f64 v[158:159], v[172:173], v[158:159]
	v_accvgpr_read_b32 v173, a39
	v_mul_f64 v[154:155], v[166:167], s[24:25]
	v_accvgpr_read_b32 v172, a38
	v_add_f64 v[154:155], v[172:173], v[154:155]
	v_accvgpr_read_b32 v173, a35
	v_mul_f64 v[124:125], v[144:145], s[18:19]
	v_mul_f64 v[136:137], v[144:145], s[16:17]
	v_mul_f64 v[140:141], v[150:151], s[10:11]
	v_mul_f64 v[144:145], v[150:151], s[22:23]
	v_mul_f64 v[150:151], v[160:161], s[20:21]
	v_accvgpr_read_b32 v172, a34
	v_add_f64 v[150:151], v[172:173], v[150:151]
	v_accvgpr_read_b32 v173, a31
	v_mul_f64 v[146:147], v[152:153], s[22:23]
	v_accvgpr_read_b32 v172, a30
	v_add_f64 v[146:147], v[172:173], v[146:147]
	v_accvgpr_read_b32 v173, a27
	v_accvgpr_read_b32 v172, a26
	v_add_f64 v[136:137], v[172:173], v[136:137]
	v_accvgpr_read_b32 v173, a25
	v_accvgpr_read_b32 v172, a24
	v_add_f64 v[120:121], v[172:173], v[120:121]
	v_add_f64 v[120:121], v[6:7], v[120:121]
	;; [unrolled: 1-line block ×5, first 2 shown]
	v_accvgpr_read_b32 v151, a23
	v_accvgpr_read_b32 v150, a22
	v_add_f64 v[148:149], v[148:149], -v[150:151]
	v_accvgpr_read_b32 v151, a21
	v_accvgpr_read_b32 v150, a20
	v_add_f64 v[144:145], v[144:145], -v[150:151]
	;; [unrolled: 3-line block ×4, first 2 shown]
	v_add_f64 v[94:95], v[4:5], v[94:95]
	v_accvgpr_read_b32 v147, a29
	v_add_f64 v[94:95], v[134:135], v[94:95]
	v_mul_f64 v[142:143], v[152:153], s[10:11]
	v_mul_f64 v[152:153], v[164:165], s[24:25]
	v_accvgpr_read_b32 v137, a33
	v_accvgpr_read_b32 v146, a28
	v_add_f64 v[94:95], v[144:145], v[94:95]
	v_mul_f64 v[156:157], v[170:171], s[14:15]
	v_accvgpr_read_b32 v136, a32
	v_add_f64 v[146:147], v[152:153], -v[146:147]
	v_add_f64 v[94:95], v[148:149], v[94:95]
	v_add_f64 v[136:137], v[156:157], -v[136:137]
	v_add_f64 v[94:95], v[146:147], v[94:95]
	v_add_f64 v[94:95], v[136:137], v[94:95]
	v_accvgpr_read_b32 v137, a87
	v_accvgpr_read_b32 v136, a86
	v_add_f64 v[124:125], v[136:137], v[124:125]
	v_accvgpr_read_b32 v137, a85
	v_accvgpr_read_b32 v136, a84
	v_add_f64 v[96:97], v[136:137], v[96:97]
	v_add_f64 v[96:97], v[6:7], v[96:97]
	;; [unrolled: 1-line block ×3, first 2 shown]
	v_accvgpr_read_b32 v125, a97
	v_mul_f64 v[130:131], v[164:165], s[14:15]
	v_accvgpr_read_b32 v124, a96
	v_accvgpr_read_b32 v135, a107
	v_add_f64 v[124:125], v[130:131], -v[124:125]
	v_accvgpr_read_b32 v131, a79
	v_accvgpr_read_b32 v134, a106
	;; [unrolled: 1-line block ×3, first 2 shown]
	v_add_f64 v[122:123], v[134:135], v[122:123]
	v_accvgpr_read_b32 v135, a105
	v_add_f64 v[92:93], v[92:93], -v[130:131]
	v_accvgpr_read_b32 v131, a83
	v_mul_f64 v[128:129], v[166:167], s[14:15]
	v_accvgpr_read_b32 v134, a104
	v_accvgpr_read_b32 v130, a82
	v_add_f64 v[128:129], v[134:135], v[128:129]
	v_accvgpr_read_b32 v135, a101
	v_add_f64 v[98:99], v[98:99], -v[130:131]
	v_mul_f64 v[132:133], v[160:161], s[16:17]
	v_accvgpr_read_b32 v134, a100
	v_add_f64 v[98:99], v[4:5], v[98:99]
	v_add_f64 v[6:7], v[6:7], v[14:15]
	;; [unrolled: 1-line block ×4, first 2 shown]
	v_accvgpr_read_b32 v135, a93
	v_add_f64 v[6:7], v[22:23], v[6:7]
	v_add_f64 v[4:5], v[20:21], v[4:5]
	;; [unrolled: 1-line block ×4, first 2 shown]
	v_accvgpr_read_b32 v91, a47
	v_accvgpr_read_b32 v134, a92
	v_add_f64 v[6:7], v[10:11], v[6:7]
	v_add_f64 v[4:5], v[8:9], v[4:5]
	v_mul_f64 v[88:89], v[196:197], s[6:7]
	v_accvgpr_read_b32 v90, a46
	v_accvgpr_read_b32 v167, a45
	v_add_f64 v[134:135], v[134:135], v[142:143]
	v_add_f64 v[6:7], v[18:19], v[6:7]
	;; [unrolled: 1-line block ×4, first 2 shown]
	v_mul_f64 v[90:91], v[176:177], s[10:11]
	v_accvgpr_read_b32 v166, a44
	v_add_f64 v[120:121], v[154:155], v[120:121]
	v_add_f64 v[96:97], v[134:135], v[96:97]
	;; [unrolled: 1-line block ×10, first 2 shown]
	v_accvgpr_read_b32 v121, a37
	v_add_f64 v[96:97], v[128:129], v[96:97]
	v_add_f64 v[6:7], v[26:27], v[6:7]
	;; [unrolled: 1-line block ×3, first 2 shown]
	v_mul_f64 v[164:165], v[178:179], s[10:11]
	v_add_f64 v[90:91], v[88:89], v[90:91]
	v_accvgpr_read_b32 v89, a41
	v_accvgpr_read_b32 v120, a36
	v_add_f64 v[96:97], v[122:123], v[96:97]
	v_accvgpr_read_b32 v123, a99
	v_add_f64 v[6:7], v[38:39], v[6:7]
	v_add_f64 v[4:5], v[36:37], v[4:5]
	v_mul_f64 v[126:127], v[170:171], s[22:23]
	v_mul_f64 v[170:171], v[190:191], s[6:7]
	v_accvgpr_read_b32 v88, a40
	v_add_f64 v[120:121], v[164:165], -v[120:121]
	v_accvgpr_read_b32 v122, a98
	v_accvgpr_read_b32 v129, a81
	v_add_f64 v[6:7], v[42:43], v[6:7]
	v_add_f64 v[4:5], v[40:41], v[4:5]
	v_add_f64 v[88:89], v[170:171], -v[88:89]
	v_add_f64 v[94:95], v[120:121], v[94:95]
	v_accvgpr_read_b32 v121, a11
	v_add_f64 v[122:123], v[126:127], -v[122:123]
	v_accvgpr_read_b32 v127, a95
	v_accvgpr_read_b32 v128, a80
	v_add_f64 v[6:7], v[50:51], v[6:7]
	v_add_f64 v[4:5], v[48:49], v[4:5]
	v_mul_f64 v[162:163], v[176:177], s[24:25]
	v_add_f64 v[88:89], v[88:89], v[94:95]
	v_accvgpr_read_b32 v95, a15
	v_accvgpr_read_b32 v120, a10
	;; [unrolled: 1-line block ×3, first 2 shown]
	v_add_f64 v[128:129], v[140:141], -v[128:129]
	v_add_f64 v[92:93], v[92:93], v[98:99]
	v_add_f64 v[6:7], v[46:47], v[6:7]
	;; [unrolled: 1-line block ×3, first 2 shown]
	v_mul_f64 v[168:169], v[196:197], s[20:21]
	v_accvgpr_read_b32 v94, a14
	v_add_f64 v[120:121], v[120:121], v[162:163]
	v_add_f64 v[126:127], v[138:139], -v[126:127]
	v_add_f64 v[92:93], v[128:129], v[92:93]
	v_add_f64 v[6:7], v[54:55], v[6:7]
	;; [unrolled: 1-line block ×5, first 2 shown]
	v_accvgpr_read_b32 v121, a103
	v_add_f64 v[92:93], v[126:127], v[92:93]
	v_add_f64 v[6:7], v[58:59], v[6:7]
	;; [unrolled: 1-line block ×3, first 2 shown]
	v_accvgpr_read_b32 v226, a0
	v_mul_f64 v[160:161], v[178:179], s[24:25]
	v_add_f64 v[94:95], v[94:95], v[96:97]
	v_accvgpr_read_b32 v97, a13
	v_accvgpr_read_b32 v120, a102
	v_add_f64 v[92:93], v[124:125], v[92:93]
	v_add_f64 v[6:7], v[62:63], v[6:7]
	;; [unrolled: 1-line block ×3, first 2 shown]
	v_accvgpr_read_b32 v246, a3
	v_accvgpr_read_b32 v219, a9
	v_mul_f64 v[166:167], v[190:191], s[20:21]
	v_accvgpr_read_b32 v96, a12
	v_add_f64 v[120:121], v[160:161], -v[120:121]
	v_add_f64 v[92:93], v[122:123], v[92:93]
	v_add_f64 v[6:7], v[66:67], v[6:7]
	;; [unrolled: 1-line block ×3, first 2 shown]
	v_mul_lo_u16_e32 v8, 17, v226
	v_accvgpr_read_b32 v218, a8
	v_accvgpr_read_b32 v217, a7
	;; [unrolled: 1-line block ×4, first 2 shown]
	v_add_f64 v[96:97], v[166:167], -v[96:97]
	v_add_f64 v[92:93], v[120:121], v[92:93]
	v_add_f64 v[6:7], v[74:75], v[6:7]
	;; [unrolled: 1-line block ×3, first 2 shown]
	v_add_lshl_u32 v8, v246, v8, 4
	v_add_f64 v[92:93], v[96:97], v[92:93]
	ds_write_b128 v8, v[4:7]
	ds_write_b128 v8, v[92:95] offset:16
	ds_write_b128 v8, v[88:91] offset:32
	;; [unrolled: 1-line block ×16, first 2 shown]
.LBB0_7:
	s_or_b64 exec, exec, s[0:1]
	v_add_lshl_u32 v48, v246, v226, 4
	s_waitcnt lgkmcnt(0)
	s_barrier
	ds_read_b128 v[60:63], v48
	ds_read_b128 v[56:59], v48 offset:1088
	ds_read_b128 v[96:99], v48 offset:7616
	;; [unrolled: 1-line block ×11, first 2 shown]
	v_cmp_gt_u16_e64 s[0:1], 34, v226
	s_and_saveexec_b64 s[6:7], s[0:1]
	s_cbranch_execz .LBB0_9
; %bb.8:
	ds_read_b128 v[76:79], v48 offset:3264
	ds_read_b128 v[84:87], v48 offset:7072
	;; [unrolled: 1-line block ×4, first 2 shown]
.LBB0_9:
	s_or_b64 exec, exec, s[6:7]
	s_movk_i32 s10, 0xf1
	v_add_u16_e32 v2, 0x44, v226
	v_mul_lo_u16_sdwa v0, v226, s10 dst_sel:DWORD dst_unused:UNUSED_PAD src0_sel:BYTE_0 src1_sel:DWORD
	v_mul_lo_u16_sdwa v3, v2, s10 dst_sel:DWORD dst_unused:UNUSED_PAD src0_sel:BYTE_0 src1_sel:DWORD
	v_lshrrev_b16_e32 v11, 12, v0
	v_lshrrev_b16_e32 v118, 12, v3
	v_mul_lo_u16_e32 v0, 17, v11
	v_mul_lo_u16_e32 v3, 17, v118
	v_sub_u16_e32 v0, v226, v0
	v_sub_u16_e32 v2, v2, v3
	v_and_b32_e32 v49, 0xff, v0
	v_and_b32_e32 v119, 0xff, v2
	v_mad_u64_u32 v[0:1], s[6:7], v49, 48, s[2:3]
	v_mad_u64_u32 v[2:3], s[6:7], v119, 48, s[2:3]
	v_add_u16_e32 v9, 0x88, v226
	global_load_dwordx4 v[38:41], v[0:1], off offset:16
	global_load_dwordx4 v[134:137], v[0:1], off
	global_load_dwordx4 v[138:141], v[2:3], off offset:32
	global_load_dwordx4 v[142:145], v[2:3], off offset:16
	;; [unrolled: 1-line block ×3, first 2 shown]
	global_load_dwordx4 v[150:153], v[2:3], off
	v_mul_lo_u16_sdwa v0, v9, s10 dst_sel:DWORD dst_unused:UNUSED_PAD src0_sel:BYTE_0 src1_sel:DWORD
	v_add_u16_e32 v8, 0xcc, v226
	v_lshrrev_b16_e32 v120, 12, v0
	v_mul_u32_u24_e32 v10, 0xf0f1, v8
	v_mul_lo_u16_e32 v0, 17, v120
	v_lshrrev_b32_e32 v227, 20, v10
	v_sub_u16_e32 v0, v9, v0
	v_mul_lo_u16_e32 v2, 17, v227
	v_and_b32_e32 v121, 0xff, v0
	v_sub_u16_e32 v2, v8, v2
	v_mad_u64_u32 v[0:1], s[6:7], v121, 48, s[2:3]
	v_accvgpr_write_b32 a3, v2
	v_mul_lo_u16_e32 v2, 48, v2
	v_mov_b32_e32 v3, 0
	global_load_dwordx4 v[154:157], v[0:1], off offset:16
	global_load_dwordx4 v[158:161], v[0:1], off
	global_load_dwordx4 v[162:165], v[0:1], off offset:32
	v_lshl_add_u64 v[0:1], s[2:3], 0, v[2:3]
	global_load_dwordx4 v[126:129], v[0:1], off
	global_load_dwordx4 v[130:133], v[0:1], off offset:16
	global_load_dwordx4 v[122:125], v[0:1], off offset:32
	v_mul_u32_u24_e32 v11, 0x44, v11
	v_add_u32_e32 v11, v11, v49
	s_load_dwordx4 s[4:7], s[4:5], 0x0
	s_movk_i32 s15, 0x44
	s_mov_b32 s14, 0xf0f1
	s_waitcnt lgkmcnt(0)
	s_barrier
	s_waitcnt vmcnt(9)
	v_mul_f64 v[20:21], v[106:107], v[140:141]
	v_mul_f64 v[4:5], v[98:99], v[40:41]
	;; [unrolled: 1-line block ×3, first 2 shown]
	s_waitcnt vmcnt(7)
	v_mul_f64 v[12:13], v[114:115], v[148:149]
	v_mul_f64 v[2:3], v[108:109], v[136:137]
	;; [unrolled: 1-line block ×4, first 2 shown]
	s_waitcnt vmcnt(6)
	v_mul_f64 v[16:17], v[102:103], v[152:153]
	v_mul_f64 v[18:19], v[66:67], v[144:145]
	v_fma_f64 v[0:1], v[108:109], v[134:135], -v[0:1]
	v_fma_f64 v[4:5], v[96:97], v[38:39], -v[4:5]
	v_accvgpr_write_b32 a18, v38
	v_fma_f64 v[12:13], v[112:113], v[146:147], -v[12:13]
	v_mul_f64 v[28:29], v[100:101], v[152:153]
	v_mul_f64 v[30:31], v[64:65], v[144:145]
	;; [unrolled: 1-line block ×3, first 2 shown]
	v_fmac_f64_e32 v[2:3], v[110:111], v[134:135]
	v_accvgpr_write_b32 a19, v39
	v_accvgpr_write_b32 a20, v40
	s_waitcnt vmcnt(4)
	v_mul_f64 v[22:23], v[74:75], v[160:161]
	v_mul_f64 v[44:45], v[72:73], v[160:161]
	s_waitcnt vmcnt(2)
	v_mul_f64 v[34:35], v[86:87], v[128:129]
	s_waitcnt vmcnt(1)
	v_mul_f64 v[36:37], v[82:83], v[132:133]
	v_mul_f64 v[116:117], v[84:85], v[128:129]
	v_accvgpr_write_b32 a21, v41
	v_fmac_f64_e32 v[6:7], v[98:99], v[38:39]
	v_fmac_f64_e32 v[14:15], v[114:115], v[146:147]
	v_fma_f64 v[38:39], v[100:101], v[150:151], -v[16:17]
	v_fma_f64 v[40:41], v[64:65], v[142:143], -v[18:19]
	;; [unrolled: 1-line block ×3, first 2 shown]
	v_fmac_f64_e32 v[44:45], v[74:75], v[158:159]
	v_fma_f64 v[74:75], v[84:85], v[126:127], -v[34:35]
	v_fma_f64 v[84:85], v[80:81], v[130:131], -v[36:37]
	v_mul_f64 v[80:81], v[80:81], v[132:133]
	s_waitcnt vmcnt(0)
	v_mul_f64 v[16:17], v[70:71], v[124:125]
	v_add_f64 v[4:5], v[60:61], -v[4:5]
	v_add_f64 v[22:23], v[0:1], -v[12:13]
	v_fmac_f64_e32 v[28:29], v[102:103], v[150:151]
	v_fma_f64 v[42:43], v[104:105], v[138:139], -v[20:21]
	v_fmac_f64_e32 v[32:33], v[106:107], v[138:139]
	v_fmac_f64_e32 v[80:81], v[82:83], v[130:131]
	v_fma_f64 v[82:83], v[68:69], v[122:123], -v[16:17]
	v_add_f64 v[6:7], v[62:63], -v[6:7]
	v_fma_f64 v[16:17], v[60:61], 2.0, -v[4:5]
	v_add_f64 v[20:21], v[2:3], -v[14:15]
	v_fma_f64 v[0:1], v[0:1], 2.0, -v[22:23]
	v_mul_f64 v[24:25], v[90:91], v[156:157]
	v_mul_f64 v[26:27], v[94:95], v[164:165]
	v_fmac_f64_e32 v[30:31], v[66:67], v[142:143]
	v_fma_f64 v[18:19], v[62:63], 2.0, -v[6:7]
	v_fma_f64 v[2:3], v[2:3], 2.0, -v[20:21]
	v_add_f64 v[12:13], v[16:17], -v[0:1]
	v_add_f64 v[20:21], v[4:5], -v[20:21]
	;; [unrolled: 1-line block ×5, first 2 shown]
	v_mul_f64 v[46:47], v[88:89], v[156:157]
	v_mul_f64 v[50:51], v[92:93], v[164:165]
	v_fma_f64 v[66:67], v[88:89], v[154:155], -v[24:25]
	v_fma_f64 v[72:73], v[92:93], v[162:163], -v[26:27]
	v_add_f64 v[14:15], v[18:19], -v[2:3]
	v_add_f64 v[22:23], v[6:7], v[22:23]
	v_fma_f64 v[24:25], v[4:5], 2.0, -v[20:21]
	v_add_f64 v[2:3], v[58:59], -v[30:31]
	v_fma_f64 v[4:5], v[56:57], 2.0, -v[0:1]
	v_fma_f64 v[30:31], v[38:39], 2.0, -v[40:41]
	;; [unrolled: 1-line block ×3, first 2 shown]
	v_add_f64 v[36:37], v[0:1], -v[36:37]
	v_fmac_f64_e32 v[46:47], v[90:91], v[154:155]
	v_fmac_f64_e32 v[50:51], v[94:95], v[162:163]
	v_fma_f64 v[26:27], v[6:7], 2.0, -v[22:23]
	v_fma_f64 v[6:7], v[58:59], 2.0, -v[2:3]
	v_add_f64 v[28:29], v[4:5], -v[30:31]
	v_add_f64 v[38:39], v[2:3], v[40:41]
	v_fma_f64 v[40:41], v[0:1], 2.0, -v[36:37]
	v_add_f64 v[0:1], v[52:53], -v[66:67]
	v_add_f64 v[58:59], v[64:65], -v[72:73]
	v_mul_f64 v[68:69], v[68:69], v[124:125]
	v_add_f64 v[30:31], v[6:7], -v[32:33]
	v_fma_f64 v[32:33], v[4:5], 2.0, -v[28:29]
	v_fma_f64 v[42:43], v[2:3], 2.0, -v[38:39]
	v_add_f64 v[2:3], v[54:55], -v[46:47]
	v_fma_f64 v[4:5], v[52:53], 2.0, -v[0:1]
	v_add_f64 v[50:51], v[44:45], -v[50:51]
	v_fma_f64 v[46:47], v[64:65], 2.0, -v[58:59]
	v_fmac_f64_e32 v[116:117], v[86:87], v[126:127]
	v_fmac_f64_e32 v[68:69], v[70:71], v[122:123]
	v_fma_f64 v[34:35], v[6:7], 2.0, -v[30:31]
	v_fma_f64 v[6:7], v[54:55], 2.0, -v[2:3]
	v_fma_f64 v[52:53], v[44:45], 2.0, -v[50:51]
	v_add_f64 v[44:45], v[4:5], -v[46:47]
	v_accvgpr_write_b32 a10, v126
	v_add_f64 v[46:47], v[6:7], -v[52:53]
	v_fma_f64 v[52:53], v[4:5], 2.0, -v[44:45]
	v_add_f64 v[4:5], v[76:77], -v[84:85]
	v_add_f64 v[64:65], v[116:117], -v[68:69]
	v_accvgpr_write_b32 a11, v127
	v_accvgpr_write_b32 a12, v128
	;; [unrolled: 1-line block ×3, first 2 shown]
	v_fma_f64 v[68:69], v[116:117], 2.0, -v[64:65]
	v_add_f64 v[128:129], v[4:5], -v[64:65]
	v_add_lshl_u32 v64, v246, v11, 4
	v_mul_u32_u24_e32 v11, 0x44, v118
	v_add_u32_e32 v11, v11, v119
	v_fma_f64 v[54:55], v[6:7], 2.0, -v[46:47]
	v_add_f64 v[56:57], v[0:1], -v[50:51]
	v_add_f64 v[58:59], v[2:3], v[58:59]
	v_add_f64 v[6:7], v[78:79], -v[80:81]
	v_add_f64 v[50:51], v[74:75], -v[82:83]
	v_add_lshl_u32 v65, v246, v11, 4
	v_mul_u32_u24_e32 v11, 0x44, v120
	v_accvgpr_write_b32 a22, v134
	v_accvgpr_write_b32 a34, v146
	;; [unrolled: 1-line block ×10, first 2 shown]
	v_fma_f64 v[60:61], v[0:1], 2.0, -v[56:57]
	v_fma_f64 v[62:63], v[2:3], 2.0, -v[58:59]
	;; [unrolled: 1-line block ×5, first 2 shown]
	v_add_u32_e32 v11, v11, v121
	v_accvgpr_write_b32 a23, v135
	v_accvgpr_write_b32 a24, v136
	;; [unrolled: 1-line block ×30, first 2 shown]
	v_fma_f64 v[16:17], v[16:17], 2.0, -v[12:13]
	v_fma_f64 v[18:19], v[18:19], 2.0, -v[14:15]
	v_add_f64 v[124:125], v[0:1], -v[66:67]
	v_add_f64 v[126:127], v[2:3], -v[68:69]
	v_add_f64 v[130:131], v[6:7], v[50:51]
	v_add_lshl_u32 v66, v246, v11, 4
	ds_write_b128 v64, v[16:19]
	ds_write_b128 v64, v[24:27] offset:272
	ds_write_b128 v64, v[12:15] offset:544
	ds_write_b128 v64, v[20:23] offset:816
	ds_write_b128 v65, v[32:35]
	ds_write_b128 v65, v[40:43] offset:272
	ds_write_b128 v65, v[28:31] offset:544
	ds_write_b128 v65, v[36:39] offset:816
	ds_write_b128 v66, v[52:55]
	ds_write_b128 v66, v[60:63] offset:272
	ds_write_b128 v66, v[44:47] offset:544
	ds_write_b128 v66, v[56:59] offset:816
	s_and_saveexec_b64 s[10:11], s[0:1]
	s_cbranch_execz .LBB0_11
; %bb.10:
	v_accvgpr_read_b32 v11, a3
	v_mad_legacy_u16 v11, v227, s15, v11
	v_fma_f64 v[2:3], v[2:3], 2.0, -v[126:127]
	v_fma_f64 v[0:1], v[0:1], 2.0, -v[124:125]
	v_add_lshl_u32 v11, v246, v11, 4
	v_fma_f64 v[6:7], v[6:7], 2.0, -v[130:131]
	v_fma_f64 v[4:5], v[4:5], 2.0, -v[128:129]
	ds_write_b128 v11, v[0:3]
	ds_write_b128 v11, v[4:7] offset:272
	ds_write_b128 v11, v[124:127] offset:544
	ds_write_b128 v11, v[128:131] offset:816
.LBB0_11:
	s_or_b64 exec, exec, s[10:11]
	v_add_u32_e32 v0, 0x110, v226
	v_mul_u32_u24_sdwa v5, v0, s14 dst_sel:DWORD dst_unused:UNUSED_PAD src0_sel:WORD_0 src1_sel:DWORD
	v_lshrrev_b32_e32 v5, 22, v5
	v_add_u32_e32 v1, 0x154, v226
	v_mul_lo_u16_e32 v5, 0x44, v5
	v_sub_u16_e32 v50, v0, v5
	v_mul_u32_u24_sdwa v5, v1, s14 dst_sel:DWORD dst_unused:UNUSED_PAD src0_sel:WORD_0 src1_sel:DWORD
	v_lshrrev_b32_e32 v5, 22, v5
	s_movk_i32 s10, 0x79
	v_mul_lo_u16_e32 v5, 0x44, v5
	v_add_u32_e32 v2, 0x198, v226
	v_mul_lo_u16_sdwa v3, v9, s10 dst_sel:DWORD dst_unused:UNUSED_PAD src0_sel:BYTE_0 src1_sel:DWORD
	v_lshlrev_b32_e32 v0, 4, v50
	v_sub_u16_e32 v51, v1, v5
	s_waitcnt lgkmcnt(0)
	s_barrier
	global_load_dwordx4 v[52:55], v232, s[2:3] offset:816
	v_lshrrev_b16_e32 v3, 13, v3
	v_lshlrev_b32_e32 v1, 4, v51
	global_load_dwordx4 v[68:71], v0, s[2:3] offset:816
	global_load_dwordx4 v[60:63], v1, s[2:3] offset:816
	v_mul_u32_u24_sdwa v0, v2, s14 dst_sel:DWORD dst_unused:UNUSED_PAD src0_sel:WORD_0 src1_sel:DWORD
	v_mul_lo_u16_e32 v3, 0x44, v3
	v_lshrrev_b32_e32 v0, 22, v0
	v_sub_u16_e32 v3, v9, v3
	v_lshrrev_b32_e32 v4, 22, v10
	v_mul_lo_u16_e32 v0, 0x44, v0
	v_and_b32_e32 v49, 0xff, v3
	v_mul_lo_u16_e32 v4, 0x44, v4
	v_sub_u16_e32 v56, v2, v0
	v_lshlrev_b32_e32 v3, 4, v49
	v_lshlrev_b32_e32 v0, 4, v56
	v_sub_u16_e32 v57, v8, v4
	global_load_dwordx4 v[72:75], v0, s[2:3] offset:816
	global_load_dwordx4 v[108:111], v3, s[2:3] offset:816
	v_lshlrev_b32_e32 v0, 4, v57
	global_load_dwordx4 v[104:107], v0, s[2:3] offset:816
	ds_read_b128 v[0:3], v48 offset:7616
	ds_read_b128 v[4:7], v48
	ds_read_b128 v[8:11], v48 offset:1088
	ds_read_b128 v[12:15], v48 offset:8704
	;; [unrolled: 1-line block ×12, first 2 shown]
	s_waitcnt lgkmcnt(0)
	s_barrier
	v_add_lshl_u32 v67, v246, v49, 4
	s_movk_i32 s10, 0x60
	s_mov_b32 s16, 0xe976ee23
	s_mov_b32 s17, 0xbfe11646
	;; [unrolled: 1-line block ×16, first 2 shown]
	s_waitcnt vmcnt(5)
	v_mul_f64 v[84:85], v[2:3], v[54:55]
	v_mul_f64 v[86:87], v[0:1], v[54:55]
	;; [unrolled: 1-line block ×4, first 2 shown]
	v_fma_f64 v[0:1], v[0:1], v[52:53], -v[84:85]
	v_fmac_f64_e32 v[86:87], v[2:3], v[52:53]
	v_fma_f64 v[12:13], v[12:13], v[52:53], -v[88:89]
	v_fmac_f64_e32 v[90:91], v[14:15], v[52:53]
	v_add_f64 v[0:1], v[4:5], -v[0:1]
	v_add_f64 v[2:3], v[6:7], -v[86:87]
	s_waitcnt vmcnt(4)
	v_mul_f64 v[84:85], v[34:35], v[70:71]
	v_mul_f64 v[86:87], v[32:33], v[70:71]
	v_add_f64 v[12:13], v[8:9], -v[12:13]
	v_add_f64 v[14:15], v[10:11], -v[90:91]
	v_fma_f64 v[4:5], v[4:5], 2.0, -v[0:1]
	v_fma_f64 v[6:7], v[6:7], 2.0, -v[2:3]
	s_waitcnt vmcnt(3)
	v_mul_f64 v[88:89], v[78:79], v[62:63]
	s_waitcnt vmcnt(1)
	v_mul_f64 v[96:97], v[18:19], v[110:111]
	v_mul_f64 v[98:99], v[16:17], v[110:111]
	s_waitcnt vmcnt(0)
	v_mul_f64 v[100:101], v[30:31], v[106:107]
	v_mul_f64 v[102:103], v[28:29], v[106:107]
	v_fma_f64 v[16:17], v[16:17], v[108:109], -v[96:97]
	v_fmac_f64_e32 v[98:99], v[18:19], v[108:109]
	v_fma_f64 v[28:29], v[28:29], v[104:105], -v[100:101]
	v_fmac_f64_e32 v[102:103], v[30:31], v[104:105]
	v_mul_f64 v[90:91], v[76:77], v[62:63]
	v_fma_f64 v[32:33], v[32:33], v[68:69], -v[84:85]
	v_fmac_f64_e32 v[86:87], v[34:35], v[68:69]
	v_add_f64 v[16:17], v[20:21], -v[16:17]
	v_add_f64 v[18:19], v[22:23], -v[98:99]
	;; [unrolled: 1-line block ×4, first 2 shown]
	v_fma_f64 v[8:9], v[8:9], 2.0, -v[12:13]
	v_fma_f64 v[10:11], v[10:11], 2.0, -v[14:15]
	v_fma_f64 v[76:77], v[76:77], v[60:61], -v[88:89]
	v_fmac_f64_e32 v[90:91], v[78:79], v[60:61]
	v_fma_f64 v[20:21], v[20:21], 2.0, -v[16:17]
	v_fma_f64 v[22:23], v[22:23], 2.0, -v[18:19]
	;; [unrolled: 1-line block ×4, first 2 shown]
	v_add_f64 v[32:33], v[36:37], -v[32:33]
	v_add_f64 v[34:35], v[38:39], -v[86:87]
	ds_write_b128 v48, v[4:7]
	ds_write_b128 v48, v[0:3] offset:1088
	ds_write_b128 v48, v[8:11] offset:2176
	;; [unrolled: 1-line block ×3, first 2 shown]
	v_add_lshl_u32 v0, v246, v57, 4
	v_mul_f64 v[92:93], v[82:83], v[74:75]
	v_mul_f64 v[94:95], v[80:81], v[74:75]
	v_fma_f64 v[36:37], v[36:37], 2.0, -v[32:33]
	v_fma_f64 v[38:39], v[38:39], 2.0, -v[34:35]
	v_add_f64 v[76:77], v[40:41], -v[76:77]
	v_add_f64 v[78:79], v[42:43], -v[90:91]
	ds_write_b128 v67, v[20:23] offset:4352
	ds_write_b128 v67, v[16:19] offset:5440
	;; [unrolled: 1-line block ×3, first 2 shown]
	v_accvgpr_write_b32 a77, v0
	ds_write_b128 v0, v[28:31] offset:7616
	v_add_lshl_u32 v0, v246, v50, 4
	v_fma_f64 v[80:81], v[80:81], v[72:73], -v[92:93]
	v_fmac_f64_e32 v[94:95], v[82:83], v[72:73]
	v_fma_f64 v[40:41], v[40:41], 2.0, -v[76:77]
	v_fma_f64 v[42:43], v[42:43], 2.0, -v[78:79]
	ds_write_b128 v0, v[36:39] offset:8704
	v_accvgpr_write_b32 a78, v0
	ds_write_b128 v0, v[32:35] offset:9792
	v_add_lshl_u32 v0, v246, v51, 4
	v_add_f64 v[80:81], v[44:45], -v[80:81]
	v_add_f64 v[82:83], v[46:47], -v[94:95]
	ds_write_b128 v0, v[40:43] offset:10880
	v_accvgpr_write_b32 a79, v0
	ds_write_b128 v0, v[76:79] offset:11968
	v_mov_b64_e32 v[0:1], s[2:3]
	v_fma_f64 v[44:45], v[44:45], 2.0, -v[80:81]
	v_fma_f64 v[46:47], v[46:47], 2.0, -v[82:83]
	v_add_lshl_u32 v76, v246, v56, 4
	v_mad_u64_u32 v[0:1], s[2:3], v226, s10, v[0:1]
	ds_write_b128 v76, v[44:47] offset:13056
	ds_write_b128 v76, v[80:83] offset:14144
	s_waitcnt lgkmcnt(0)
	s_barrier
	global_load_dwordx4 v[88:91], v[0:1], off offset:1904
	global_load_dwordx4 v[84:87], v[0:1], off offset:1920
	;; [unrolled: 1-line block ×6, first 2 shown]
	s_mov_b64 s[2:3], 0x1980
	v_accvgpr_write_b32 a72, v108
	v_accvgpr_write_b32 a68, v104
	v_lshl_add_u64 v[0:1], v[0:1], 0, s[2:3]
	v_accvgpr_write_b32 a73, v109
	v_accvgpr_write_b32 a74, v110
	;; [unrolled: 1-line block ×6, first 2 shown]
	global_load_dwordx4 v[112:115], v[0:1], off offset:1904
	global_load_dwordx4 v[108:111], v[0:1], off offset:1920
	;; [unrolled: 1-line block ×6, first 2 shown]
	ds_read_b128 v[0:3], v48
	ds_read_b128 v[160:163], v48 offset:1088
	ds_read_b128 v[4:7], v48 offset:2176
	;; [unrolled: 1-line block ×13, first 2 shown]
	s_mov_b32 s10, 0x37e14327
	s_mov_b32 s2, 0x36b3c0b5
	;; [unrolled: 1-line block ×4, first 2 shown]
	s_waitcnt vmcnt(11) lgkmcnt(11)
	v_mul_f64 v[138:139], v[4:5], v[90:91]
	s_waitcnt vmcnt(10) lgkmcnt(9)
	v_mul_f64 v[140:141], v[14:15], v[86:87]
	v_mul_f64 v[136:137], v[6:7], v[90:91]
	;; [unrolled: 1-line block ×3, first 2 shown]
	v_fmac_f64_e32 v[138:139], v[6:7], v[88:89]
	v_fma_f64 v[6:7], v[12:13], v[84:85], -v[140:141]
	s_waitcnt vmcnt(9) lgkmcnt(7)
	v_mul_f64 v[12:13], v[22:23], v[58:59]
	v_fmac_f64_e32 v[142:143], v[14:15], v[84:85]
	v_fma_f64 v[12:13], v[20:21], v[56:57], -v[12:13]
	v_mul_f64 v[14:15], v[20:21], v[58:59]
	s_waitcnt vmcnt(8) lgkmcnt(5)
	v_mul_f64 v[20:21], v[30:31], v[80:81]
	v_fmac_f64_e32 v[14:15], v[22:23], v[56:57]
	v_fma_f64 v[20:21], v[28:29], v[78:79], -v[20:21]
	v_mul_f64 v[22:23], v[28:29], v[80:81]
	;; [unrolled: 5-line block ×4, first 2 shown]
	s_waitcnt vmcnt(5)
	v_mul_f64 v[44:45], v[10:11], v[114:115]
	v_fma_f64 v[44:45], v[8:9], v[112:113], -v[44:45]
	v_mul_f64 v[8:9], v[8:9], v[114:115]
	v_fmac_f64_e32 v[8:9], v[10:11], v[112:113]
	s_waitcnt vmcnt(4)
	v_mul_f64 v[10:11], v[18:19], v[110:111]
	v_fma_f64 v[10:11], v[16:17], v[108:109], -v[10:11]
	v_mul_f64 v[16:17], v[16:17], v[110:111]
	v_fmac_f64_e32 v[16:17], v[18:19], v[108:109]
	;; [unrolled: 5-line block ×4, first 2 shown]
	s_waitcnt vmcnt(1)
	v_mul_f64 v[34:35], v[42:43], v[122:123]
	v_fma_f64 v[34:35], v[40:41], v[120:121], -v[34:35]
	v_mul_f64 v[40:41], v[40:41], v[122:123]
	v_fma_f64 v[4:5], v[4:5], v[88:89], -v[136:137]
	v_fmac_f64_e32 v[38:39], v[46:47], v[92:93]
	v_fmac_f64_e32 v[40:41], v[42:43], v[120:121]
	s_waitcnt vmcnt(0) lgkmcnt(0)
	v_mul_f64 v[42:43], v[134:135], v[118:119]
	v_mul_f64 v[46:47], v[132:133], v[118:119]
	v_fma_f64 v[42:43], v[132:133], v[116:117], -v[42:43]
	v_fmac_f64_e32 v[46:47], v[134:135], v[116:117]
	v_add_f64 v[132:133], v[4:5], v[36:37]
	v_add_f64 v[134:135], v[138:139], v[38:39]
	v_add_f64 v[4:5], v[4:5], -v[36:37]
	v_add_f64 v[36:37], v[138:139], -v[38:39]
	v_add_f64 v[38:39], v[6:7], v[28:29]
	v_add_f64 v[136:137], v[142:143], v[30:31]
	v_add_f64 v[6:7], v[6:7], -v[28:29]
	v_add_f64 v[28:29], v[142:143], -v[30:31]
	;; [unrolled: 4-line block ×4, first 2 shown]
	v_add_f64 v[144:145], v[132:133], -v[30:31]
	v_add_f64 v[146:147], v[134:135], -v[138:139]
	;; [unrolled: 1-line block ×4, first 2 shown]
	v_add_f64 v[132:133], v[12:13], v[6:7]
	v_add_f64 v[134:135], v[14:15], v[28:29]
	v_add_f64 v[148:149], v[12:13], -v[6:7]
	v_add_f64 v[150:151], v[14:15], -v[28:29]
	v_add_f64 v[20:21], v[30:31], v[20:21]
	v_add_f64 v[22:23], v[138:139], v[22:23]
	v_add_f64 v[12:13], v[4:5], -v[12:13]
	v_add_f64 v[14:15], v[36:37], -v[14:15]
	;; [unrolled: 1-line block ×4, first 2 shown]
	v_add_f64 v[4:5], v[132:133], v[4:5]
	v_add_f64 v[30:31], v[134:135], v[36:37]
	;; [unrolled: 1-line block ×4, first 2 shown]
	v_mul_f64 v[0:1], v[144:145], s[10:11]
	v_mul_f64 v[2:3], v[146:147], s[10:11]
	;; [unrolled: 1-line block ×8, first 2 shown]
	v_fma_f64 v[20:21], s[18:19], v[20:21], v[132:133]
	v_fma_f64 v[22:23], s[18:19], v[22:23], v[134:135]
	v_fma_f64 v[36:37], v[140:141], s[20:21], -v[36:37]
	v_fma_f64 v[138:139], v[142:143], s[20:21], -v[138:139]
	;; [unrolled: 1-line block ×3, first 2 shown]
	v_fmac_f64_e32 v[0:1], s[2:3], v[38:39]
	v_fma_f64 v[38:39], v[142:143], s[22:23], -v[2:3]
	v_fmac_f64_e32 v[2:3], s[2:3], v[136:137]
	v_fma_f64 v[6:7], v[6:7], s[14:15], -v[158:159]
	;; [unrolled: 2-line block ×4, first 2 shown]
	v_fma_f64 v[14:15], v[14:15], s[28:29], -v[146:147]
	v_add_f64 v[0:1], v[0:1], v[20:21]
	v_add_f64 v[2:3], v[2:3], v[22:23]
	;; [unrolled: 1-line block ×3, first 2 shown]
	v_fmac_f64_e32 v[158:159], s[26:27], v[4:5]
	v_fmac_f64_e32 v[156:157], s[26:27], v[30:31]
	;; [unrolled: 1-line block ×3, first 2 shown]
	v_add_f64 v[36:37], v[36:37], v[20:21]
	v_add_f64 v[20:21], v[140:141], v[20:21]
	;; [unrolled: 1-line block ×3, first 2 shown]
	v_fmac_f64_e32 v[12:13], s[26:27], v[4:5]
	v_fmac_f64_e32 v[14:15], s[26:27], v[30:31]
	v_add_f64 v[136:137], v[156:157], v[0:1]
	v_add_f64 v[138:139], v[2:3], -v[158:159]
	v_add_f64 v[146:147], v[6:7], v[150:151]
	v_add_f64 v[150:151], v[150:151], -v[6:7]
	v_add_f64 v[156:157], v[0:1], -v[156:157]
	v_add_f64 v[158:159], v[158:159], v[2:3]
	v_add_f64 v[0:1], v[44:45], v[42:43]
	;; [unrolled: 1-line block ×3, first 2 shown]
	v_add_f64 v[6:7], v[8:9], -v[46:47]
	v_add_f64 v[8:9], v[10:11], v[34:35]
	v_fmac_f64_e32 v[28:29], s[26:27], v[30:31]
	v_add_f64 v[140:141], v[14:15], v[20:21]
	v_add_f64 v[142:143], v[22:23], -v[12:13]
	v_add_f64 v[152:153], v[20:21], -v[14:15]
	v_add_f64 v[154:155], v[12:13], v[22:23]
	v_add_f64 v[12:13], v[16:17], v[40:41]
	v_add_f64 v[14:15], v[16:17], -v[40:41]
	v_add_f64 v[16:17], v[18:19], v[26:27]
	v_add_f64 v[20:21], v[24:25], v[32:33]
	v_add_f64 v[22:23], v[32:33], -v[24:25]
	v_add_f64 v[24:25], v[8:9], v[0:1]
	v_add_f64 v[144:145], v[36:37], -v[28:29]
	;; [unrolled: 2-line block ×3, first 2 shown]
	v_add_f64 v[10:11], v[10:11], -v[34:35]
	v_add_f64 v[18:19], v[26:27], -v[18:19]
	v_add_f64 v[26:27], v[12:13], v[2:3]
	v_add_f64 v[28:29], v[8:9], -v[0:1]
	v_add_f64 v[0:1], v[0:1], -v[16:17]
	v_add_f64 v[8:9], v[16:17], -v[8:9]
	v_add_f64 v[34:35], v[22:23], v[14:15]
	v_add_f64 v[38:39], v[22:23], -v[14:15]
	v_add_f64 v[14:15], v[14:15], -v[6:7]
	v_add_f64 v[16:17], v[16:17], v[24:25]
	v_add_f64 v[30:31], v[12:13], -v[2:3]
	v_add_f64 v[2:3], v[2:3], -v[20:21]
	;; [unrolled: 1-line block ×3, first 2 shown]
	v_add_f64 v[32:33], v[18:19], v[10:11]
	v_add_f64 v[36:37], v[18:19], -v[10:11]
	v_add_f64 v[22:23], v[6:7], -v[22:23]
	;; [unrolled: 1-line block ×3, first 2 shown]
	v_add_f64 v[20:21], v[20:21], v[26:27]
	v_add_f64 v[6:7], v[34:35], v[6:7]
	;; [unrolled: 1-line block ×3, first 2 shown]
	v_mul_f64 v[0:1], v[0:1], s[10:11]
	v_mul_f64 v[34:35], v[38:39], s[16:17]
	;; [unrolled: 1-line block ×3, first 2 shown]
	v_add_f64 v[18:19], v[4:5], -v[18:19]
	v_add_f64 v[4:5], v[32:33], v[4:5]
	v_add_f64 v[162:163], v[162:163], v[20:21]
	v_mul_f64 v[2:3], v[2:3], s[10:11]
	v_mul_f64 v[24:25], v[8:9], s[2:3]
	;; [unrolled: 1-line block ×5, first 2 shown]
	v_fma_f64 v[16:17], s[18:19], v[16:17], v[160:161]
	v_fma_f64 v[8:9], s[2:3], v[8:9], v[0:1]
	v_fma_f64 v[0:1], v[28:29], s[22:23], -v[0:1]
	v_fma_f64 v[14:15], v[14:15], s[14:15], -v[34:35]
	v_fmac_f64_e32 v[34:35], s[24:25], v[22:23]
	v_fma_f64 v[22:23], v[22:23], s[28:29], -v[38:39]
	v_fma_f64 v[20:21], s[18:19], v[20:21], v[162:163]
	v_fma_f64 v[24:25], v[28:29], s[20:21], -v[24:25]
	v_fma_f64 v[26:27], v[30:31], s[20:21], -v[26:27]
	;; [unrolled: 1-line block ×3, first 2 shown]
	v_fmac_f64_e32 v[2:3], s[2:3], v[12:13]
	v_fma_f64 v[12:13], s[24:25], v[18:19], v[32:33]
	v_fma_f64 v[10:11], v[10:11], s[14:15], -v[32:33]
	v_fma_f64 v[18:19], v[18:19], s[28:29], -v[36:37]
	v_add_f64 v[0:1], v[0:1], v[16:17]
	v_fmac_f64_e32 v[22:23], s[26:27], v[6:7]
	v_accvgpr_write_b32 a89, v59
	v_add_f64 v[8:9], v[8:9], v[16:17]
	v_add_f64 v[2:3], v[2:3], v[20:21]
	;; [unrolled: 1-line block ×5, first 2 shown]
	v_fmac_f64_e32 v[12:13], s[26:27], v[4:5]
	v_fmac_f64_e32 v[34:35], s[26:27], v[6:7]
	;; [unrolled: 1-line block ×5, first 2 shown]
	v_add_f64 v[168:169], v[22:23], v[0:1]
	v_add_f64 v[180:181], v[0:1], -v[22:23]
	v_accvgpr_read_b32 v0, a1
	v_accvgpr_write_b32 a88, v58
	v_accvgpr_write_b32 a87, v57
	;; [unrolled: 1-line block ×3, first 2 shown]
	v_add_f64 v[164:165], v[34:35], v[8:9]
	v_add_f64 v[166:167], v[2:3], -v[12:13]
	v_add_f64 v[170:171], v[16:17], -v[18:19]
	;; [unrolled: 1-line block ×3, first 2 shown]
	v_add_f64 v[174:175], v[10:11], v[26:27]
	v_add_f64 v[176:177], v[14:15], v[24:25]
	v_add_f64 v[178:179], v[26:27], -v[10:11]
	v_add_f64 v[182:183], v[18:19], v[16:17]
	v_add_f64 v[184:185], v[8:9], -v[34:35]
	v_add_f64 v[186:187], v[12:13], v[2:3]
	v_lshl_add_u32 v82, v226, 4, v0
	v_add_u32_e32 v49, v0, v232
	ds_write_b128 v82, v[132:135]
	ds_write_b128 v49, v[136:139] offset:2176
	ds_write_b128 v49, v[140:143] offset:4352
	ds_write_b128 v49, v[144:147] offset:6528
	ds_write_b128 v49, v[148:151] offset:8704
	ds_write_b128 v49, v[152:155] offset:10880
	ds_write_b128 v49, v[156:159] offset:13056
	ds_write_b128 v49, v[160:163] offset:1088
	ds_write_b128 v49, v[164:167] offset:3264
	ds_write_b128 v49, v[168:171] offset:5440
	ds_write_b128 v49, v[172:175] offset:7616
	ds_write_b128 v49, v[176:179] offset:9792
	ds_write_b128 v49, v[180:183] offset:11968
	ds_write_b128 v49, v[184:187] offset:14144
	s_waitcnt lgkmcnt(0)
	s_barrier
	s_and_saveexec_b64 s[10:11], vcc
	s_cbranch_execz .LBB0_13
; %bb.12:
	s_add_u32 s14, s8, 0x3b80
	s_addc_u32 s15, s9, 0
	global_load_dwordx4 v[6:9], v232, s[14:15]
	ds_read_b128 v[2:5], v82
	v_mov_b32_e32 v233, 0
	v_lshl_add_u64 v[0:1], s[14:15], 0, v[232:233]
	s_movk_i32 s2, 0x1000
	v_add_co_u32_e64 v14, s[2:3], s2, v0
	s_waitcnt vmcnt(0) lgkmcnt(0)
	v_mul_f64 v[10:11], v[4:5], v[8:9]
	v_mul_f64 v[12:13], v[2:3], v[8:9]
	v_fma_f64 v[10:11], v[2:3], v[6:7], -v[10:11]
	v_fmac_f64_e32 v[12:13], v[4:5], v[6:7]
	global_load_dwordx4 v[6:9], v232, s[14:15] offset:896
	ds_write_b128 v82, v[10:13]
	ds_read_b128 v[2:5], v49 offset:896
	ds_read_b128 v[188:191], v49 offset:4480
	v_addc_co_u32_e64 v15, s[2:3], 0, v1, s[2:3]
	s_movk_i32 s2, 0x2000
	s_waitcnt vmcnt(0) lgkmcnt(1)
	v_mul_f64 v[10:11], v[4:5], v[8:9]
	v_mul_f64 v[12:13], v[2:3], v[8:9]
	v_fma_f64 v[10:11], v[2:3], v[6:7], -v[10:11]
	v_fmac_f64_e32 v[12:13], v[4:5], v[6:7]
	global_load_dwordx4 v[6:9], v232, s[14:15] offset:1792
	ds_read_b128 v[2:5], v49 offset:1792
	ds_write_b128 v49, v[10:13] offset:896
	s_waitcnt vmcnt(0) lgkmcnt(1)
	v_mul_f64 v[10:11], v[4:5], v[8:9]
	v_mul_f64 v[12:13], v[2:3], v[8:9]
	v_fma_f64 v[10:11], v[2:3], v[6:7], -v[10:11]
	v_fmac_f64_e32 v[12:13], v[4:5], v[6:7]
	global_load_dwordx4 v[6:9], v232, s[14:15] offset:2688
	ds_read_b128 v[2:5], v49 offset:2688
	ds_write_b128 v49, v[10:13] offset:1792
	s_waitcnt vmcnt(0) lgkmcnt(1)
	v_mul_f64 v[10:11], v[4:5], v[8:9]
	v_mul_f64 v[12:13], v[2:3], v[8:9]
	v_fma_f64 v[10:11], v[2:3], v[6:7], -v[10:11]
	v_fmac_f64_e32 v[12:13], v[4:5], v[6:7]
	global_load_dwordx4 v[6:9], v232, s[14:15] offset:3584
	ds_read_b128 v[2:5], v49 offset:3584
	ds_write_b128 v49, v[10:13] offset:2688
	s_waitcnt vmcnt(0) lgkmcnt(1)
	v_mul_f64 v[10:11], v[4:5], v[8:9]
	v_mul_f64 v[12:13], v[2:3], v[8:9]
	v_fma_f64 v[10:11], v[2:3], v[6:7], -v[10:11]
	v_fmac_f64_e32 v[12:13], v[4:5], v[6:7]
	global_load_dwordx4 v[2:5], v[14:15], off offset:384
	ds_write_b128 v49, v[10:13] offset:3584
	s_waitcnt vmcnt(0)
	v_mul_f64 v[6:7], v[190:191], v[4:5]
	v_mul_f64 v[8:9], v[188:189], v[4:5]
	v_fma_f64 v[6:7], v[188:189], v[2:3], -v[6:7]
	v_fmac_f64_e32 v[8:9], v[190:191], v[2:3]
	ds_write_b128 v49, v[6:9] offset:4480
	global_load_dwordx4 v[6:9], v[14:15], off offset:1280
	ds_read_b128 v[2:5], v49 offset:5376
	ds_read_b128 v[188:191], v49 offset:14336
	s_waitcnt vmcnt(0) lgkmcnt(1)
	v_mul_f64 v[10:11], v[4:5], v[8:9]
	v_mul_f64 v[12:13], v[2:3], v[8:9]
	v_fma_f64 v[10:11], v[2:3], v[6:7], -v[10:11]
	v_fmac_f64_e32 v[12:13], v[4:5], v[6:7]
	global_load_dwordx4 v[6:9], v[14:15], off offset:2176
	ds_read_b128 v[2:5], v49 offset:6272
	ds_write_b128 v49, v[10:13] offset:5376
	s_waitcnt vmcnt(0) lgkmcnt(1)
	v_mul_f64 v[10:11], v[4:5], v[8:9]
	v_mul_f64 v[12:13], v[2:3], v[8:9]
	v_fma_f64 v[10:11], v[2:3], v[6:7], -v[10:11]
	v_fmac_f64_e32 v[12:13], v[4:5], v[6:7]
	v_or_b32_e32 v6, 0x1c00, v232
	global_load_dwordx4 v[6:9], v6, s[14:15]
	ds_read_b128 v[2:5], v49 offset:7168
	ds_write_b128 v49, v[10:13] offset:6272
	s_waitcnt vmcnt(0) lgkmcnt(1)
	v_mul_f64 v[10:11], v[4:5], v[8:9]
	v_mul_f64 v[12:13], v[2:3], v[8:9]
	v_fma_f64 v[10:11], v[2:3], v[6:7], -v[10:11]
	v_fmac_f64_e32 v[12:13], v[4:5], v[6:7]
	global_load_dwordx4 v[6:9], v[14:15], off offset:3968
	ds_read_b128 v[2:5], v49 offset:8064
	v_add_co_u32_e64 v14, s[2:3], s2, v0
	ds_write_b128 v49, v[10:13] offset:7168
	s_nop 0
	v_addc_co_u32_e64 v15, s[2:3], 0, v1, s[2:3]
	s_movk_i32 s2, 0x3000
	s_waitcnt vmcnt(0) lgkmcnt(1)
	v_mul_f64 v[10:11], v[4:5], v[8:9]
	v_mul_f64 v[12:13], v[2:3], v[8:9]
	v_fma_f64 v[10:11], v[2:3], v[6:7], -v[10:11]
	v_fmac_f64_e32 v[12:13], v[4:5], v[6:7]
	global_load_dwordx4 v[6:9], v[14:15], off offset:768
	ds_read_b128 v[2:5], v49 offset:8960
	ds_write_b128 v49, v[10:13] offset:8064
	s_waitcnt vmcnt(0) lgkmcnt(1)
	v_mul_f64 v[10:11], v[4:5], v[8:9]
	v_mul_f64 v[12:13], v[2:3], v[8:9]
	v_fma_f64 v[10:11], v[2:3], v[6:7], -v[10:11]
	v_fmac_f64_e32 v[12:13], v[4:5], v[6:7]
	global_load_dwordx4 v[6:9], v[14:15], off offset:1664
	ds_read_b128 v[2:5], v49 offset:9856
	ds_write_b128 v49, v[10:13] offset:8960
	;; [unrolled: 8-line block ×4, first 2 shown]
	s_waitcnt vmcnt(0) lgkmcnt(1)
	v_mul_f64 v[10:11], v[4:5], v[8:9]
	v_mul_f64 v[12:13], v[2:3], v[8:9]
	v_fma_f64 v[10:11], v[2:3], v[6:7], -v[10:11]
	v_fmac_f64_e32 v[12:13], v[4:5], v[6:7]
	ds_write_b128 v49, v[10:13] offset:11648
	v_add_co_u32_e64 v10, s[2:3], s2, v0
	ds_read_b128 v[2:5], v49 offset:12544
	s_nop 0
	v_addc_co_u32_e64 v11, s[2:3], 0, v1, s[2:3]
	global_load_dwordx4 v[6:9], v[10:11], off offset:256
	s_waitcnt vmcnt(0) lgkmcnt(0)
	v_mul_f64 v[0:1], v[4:5], v[8:9]
	v_fma_f64 v[0:1], v[2:3], v[6:7], -v[0:1]
	v_mul_f64 v[2:3], v[2:3], v[8:9]
	v_fmac_f64_e32 v[2:3], v[4:5], v[6:7]
	global_load_dwordx4 v[4:7], v[10:11], off offset:1152
	ds_write_b128 v49, v[0:3] offset:12544
	ds_read_b128 v[0:3], v49 offset:13440
	s_waitcnt vmcnt(0) lgkmcnt(0)
	v_mul_f64 v[8:9], v[2:3], v[6:7]
	v_fma_f64 v[8:9], v[0:1], v[4:5], -v[8:9]
	v_mul_f64 v[10:11], v[0:1], v[6:7]
	v_or_b32_e32 v0, 0x3800, v232
	global_load_dwordx4 v[192:195], v0, s[14:15]
	v_fmac_f64_e32 v[10:11], v[2:3], v[4:5]
	ds_write_b128 v49, v[8:11] offset:13440
	s_waitcnt vmcnt(0)
	v_mul_f64 v[0:1], v[190:191], v[194:195]
	v_mul_f64 v[2:3], v[188:189], v[194:195]
	v_fma_f64 v[0:1], v[188:189], v[192:193], -v[0:1]
	v_fmac_f64_e32 v[2:3], v[190:191], v[192:193]
	ds_write_b128 v49, v[0:3] offset:14336
.LBB0_13:
	s_or_b64 exec, exec, s[10:11]
	s_waitcnt lgkmcnt(0)
	s_barrier
	s_and_saveexec_b64 s[2:3], vcc
	s_cbranch_execz .LBB0_15
; %bb.14:
	ds_read_b128 v[132:135], v82
	ds_read_b128 v[136:139], v82 offset:896
	ds_read_b128 v[140:143], v82 offset:1792
	;; [unrolled: 1-line block ×16, first 2 shown]
.LBB0_15:
	s_or_b64 exec, exec, s[2:3]
	s_mov_b32 s26, 0x923c349f
	s_waitcnt lgkmcnt(0)
	v_add_f64 v[246:247], v[138:139], -v[218:219]
	s_mov_b32 s27, 0xbfeec746
	s_mov_b32 s16, 0x2a9d6da3
	;; [unrolled: 1-line block ×3, first 2 shown]
	v_mul_f64 v[12:13], v[246:247], s[26:27]
	v_add_f64 v[242:243], v[216:217], v[136:137]
	v_add_f64 v[244:245], v[218:219], v[138:139]
	s_mov_b32 s2, 0x75d4884
	s_mov_b32 s17, 0xbfe58eea
	;; [unrolled: 1-line block ×4, first 2 shown]
	v_accvgpr_write_b32 a125, v13
	v_add_f64 v[248:249], v[136:137], -v[216:217]
	s_mov_b32 s3, 0x3fe7a5f6
	v_mul_f64 v[50:51], v[246:247], s[16:17]
	s_mov_b32 s14, 0x3259b75e
	s_mov_b32 s23, 0xbfefdd0d
	v_mul_f64 v[14:15], v[244:245], s[18:19]
	v_accvgpr_write_b32 a124, v12
	v_fma_f64 v[12:13], v[242:243], s[18:19], -v[12:13]
	v_add_f64 v[236:237], v[142:143], -v[130:131]
	v_mul_f64 v[56:57], v[244:245], s[2:3]
	v_fma_f64 v[0:1], v[242:243], s[2:3], -v[50:51]
	s_mov_b32 s20, 0x7c9e640b
	s_mov_b32 s15, 0x3fb79ee6
	v_add_f64 v[30:31], v[132:133], v[12:13]
	v_accvgpr_write_b32 a135, v15
	v_fma_f64 v[12:13], s[26:27], v[248:249], v[14:15]
	v_add_f64 v[250:251], v[128:129], v[140:141]
	v_add_f64 v[252:253], v[130:131], v[142:143]
	v_mul_f64 v[58:59], v[236:237], s[22:23]
	v_add_f64 v[0:1], v[132:133], v[0:1]
	v_fma_f64 v[2:3], s[16:17], v[248:249], v[56:57]
	s_mov_b32 s10, 0x2b2883cd
	s_mov_b32 s21, 0xbfeca52d
	v_accvgpr_write_b32 a134, v14
	v_add_f64 v[28:29], v[134:135], v[12:13]
	v_add_f64 v[204:205], v[140:141], -v[128:129]
	v_mul_f64 v[14:15], v[252:253], s[14:15]
	v_fma_f64 v[12:13], v[250:251], s[14:15], -v[58:59]
	v_add_f64 v[2:3], v[134:135], v[2:3]
	s_mov_b32 s11, 0x3fdc86fa
	v_mul_f64 v[4:5], v[246:247], s[20:21]
	v_add_f64 v[0:1], v[12:13], v[0:1]
	v_fma_f64 v[12:13], s[22:23], v[204:205], v[14:15]
	v_mul_f64 v[6:7], v[244:245], s[10:11]
	v_accvgpr_write_b32 a91, v5
	v_add_f64 v[2:3], v[12:13], v[2:3]
	s_mov_b32 s24, 0x6ed5f1bb
	v_mul_f64 v[12:13], v[236:237], s[34:35]
	v_accvgpr_write_b32 a90, v4
	v_fma_f64 v[4:5], v[242:243], s[10:11], -v[4:5]
	v_accvgpr_write_b32 a101, v7
	v_accvgpr_write_b32 a97, v15
	s_mov_b32 s25, 0xbfe348c8
	v_accvgpr_write_b32 a105, v13
	v_add_f64 v[4:5], v[132:133], v[4:5]
	v_accvgpr_write_b32 a100, v6
	v_fma_f64 v[6:7], s[20:21], v[248:249], v[6:7]
	v_accvgpr_write_b32 a96, v14
	v_mul_f64 v[14:15], v[252:253], s[24:25]
	v_accvgpr_write_b32 a104, v12
	v_fma_f64 v[12:13], v[250:251], s[24:25], -v[12:13]
	s_mov_b32 s36, 0xacd6c6b4
	v_add_f64 v[6:7], v[134:135], v[6:7]
	v_mul_f64 v[8:9], v[246:247], s[22:23]
	v_add_f64 v[12:13], v[12:13], v[4:5]
	v_fma_f64 v[4:5], s[34:35], v[204:205], v[14:15]
	s_mov_b32 s28, 0x7faef3
	s_mov_b32 s37, 0xbfc7851a
	v_accvgpr_write_b32 a109, v9
	v_accvgpr_write_b32 a113, v15
	v_add_f64 v[6:7], v[4:5], v[6:7]
	s_mov_b32 s29, 0xbfef7484
	v_mul_f64 v[4:5], v[236:237], s[36:37]
	v_mul_f64 v[10:11], v[244:245], s[14:15]
	v_accvgpr_write_b32 a108, v8
	v_fma_f64 v[8:9], v[242:243], s[14:15], -v[8:9]
	v_accvgpr_write_b32 a112, v14
	v_mul_f64 v[14:15], v[252:253], s[28:29]
	v_accvgpr_write_b32 a127, v5
	v_add_f64 v[8:9], v[132:133], v[8:9]
	v_accvgpr_write_b32 a115, v11
	v_accvgpr_write_b32 a126, v4
	v_fma_f64 v[4:5], v[250:251], s[28:29], -v[4:5]
	v_accvgpr_write_b32 a137, v15
	v_add_f64 v[208:209], v[146:147], -v[126:127]
	v_accvgpr_write_b32 a114, v10
	v_fma_f64 v[10:11], s[22:23], v[248:249], v[10:11]
	v_add_f64 v[8:9], v[4:5], v[8:9]
	v_accvgpr_write_b32 a136, v14
	v_fma_f64 v[4:5], s[36:37], v[204:205], v[14:15]
	v_mul_f64 v[14:15], v[208:209], s[34:35]
	v_add_f64 v[10:11], v[134:135], v[10:11]
	v_add_f64 v[254:255], v[144:145], v[124:125]
	;; [unrolled: 1-line block ×3, first 2 shown]
	v_accvgpr_write_b32 a99, v15
	v_add_f64 v[10:11], v[4:5], v[10:11]
	v_add_f64 v[4:5], v[144:145], -v[124:125]
	v_mul_f64 v[16:17], v[206:207], s[24:25]
	v_accvgpr_write_b32 a98, v14
	v_fma_f64 v[14:15], v[254:255], s[24:25], -v[14:15]
	v_add_f64 v[0:1], v[14:15], v[0:1]
	v_fma_f64 v[14:15], s[34:35], v[4:5], v[16:17]
	s_mov_b32 s52, s36
	v_add_f64 v[2:3], v[14:15], v[2:3]
	v_mul_f64 v[14:15], v[208:209], s[52:53]
	v_accvgpr_write_b32 a103, v17
	v_accvgpr_write_b32 a119, v15
	;; [unrolled: 1-line block ×3, first 2 shown]
	v_mul_f64 v[16:17], v[206:207], s[28:29]
	v_accvgpr_write_b32 a118, v14
	v_fma_f64 v[14:15], v[254:255], s[28:29], -v[14:15]
	v_add_f64 v[12:13], v[14:15], v[12:13]
	v_fma_f64 v[14:15], s[52:53], v[4:5], v[16:17]
	s_mov_b32 s46, s26
	v_add_f64 v[6:7], v[14:15], v[6:7]
	v_mul_f64 v[14:15], v[208:209], s[46:47]
	v_accvgpr_write_b32 a145, v15
	v_accvgpr_write_b32 a131, v17
	v_mul_f64 v[18:19], v[206:207], s[18:19]
	v_accvgpr_write_b32 a144, v14
	v_fma_f64 v[14:15], v[254:255], s[18:19], -v[14:15]
	v_accvgpr_write_b32 a130, v16
	v_add_f64 v[16:17], v[14:15], v[8:9]
	v_fma_f64 v[8:9], s[46:47], v[4:5], v[18:19]
	v_accvgpr_write_b32 a151, v19
	v_add_f64 v[10:11], v[8:9], v[10:11]
	v_add_f64 v[8:9], v[150:151], -v[186:187]
	v_accvgpr_write_b32 a150, v18
	v_mul_f64 v[18:19], v[8:9], s[36:37]
	v_add_f64 v[240:241], v[148:149], v[184:185]
	v_add_f64 v[210:211], v[150:151], v[186:187]
	v_accvgpr_write_b32 a107, v19
	v_add_f64 v[14:15], v[148:149], -v[184:185]
	v_mul_f64 v[20:21], v[210:211], s[28:29]
	v_accvgpr_write_b32 a106, v18
	v_fma_f64 v[18:19], v[240:241], s[28:29], -v[18:19]
	v_add_f64 v[0:1], v[18:19], v[0:1]
	v_fma_f64 v[18:19], s[36:37], v[14:15], v[20:21]
	v_add_f64 v[18:19], v[18:19], v[2:3]
	v_mul_f64 v[2:3], v[8:9], s[46:47]
	v_accvgpr_write_b32 a111, v21
	v_accvgpr_write_b32 a129, v3
	;; [unrolled: 1-line block ×3, first 2 shown]
	v_mul_f64 v[20:21], v[210:211], s[18:19]
	v_accvgpr_write_b32 a128, v2
	v_fma_f64 v[2:3], v[240:241], s[18:19], -v[2:3]
	s_mov_b32 s50, 0x5d8e7cdc
	v_add_f64 v[12:13], v[2:3], v[12:13]
	v_accvgpr_write_b32 a143, v21
	v_fma_f64 v[2:3], s[46:47], v[14:15], v[20:21]
	s_mov_b32 s51, 0x3fd71e95
	v_accvgpr_write_b32 a142, v20
	v_add_f64 v[20:21], v[2:3], v[6:7]
	s_mov_b32 s38, 0x370991
	v_mul_f64 v[2:3], v[8:9], s[50:51]
	s_mov_b32 s39, 0x3fedd6d0
	v_accvgpr_write_b32 a167, v3
	v_mul_f64 v[6:7], v[210:211], s[38:39]
	v_accvgpr_write_b32 a166, v2
	v_fma_f64 v[2:3], v[240:241], s[38:39], -v[2:3]
	v_add_f64 v[212:213], v[154:155], -v[182:183]
	s_mov_b32 s30, 0x910ea3b9
	v_add_f64 v[16:17], v[2:3], v[16:17]
	v_accvgpr_write_b32 a171, v7
	v_fma_f64 v[2:3], s[50:51], v[14:15], v[6:7]
	v_mul_f64 v[24:25], v[212:213], s[42:43]
	s_mov_b32 s31, 0xbfeb34fa
	v_accvgpr_write_b32 a170, v6
	v_add_f64 v[22:23], v[2:3], v[10:11]
	v_add_f64 v[6:7], v[180:181], v[152:153]
	;; [unrolled: 1-line block ×3, first 2 shown]
	v_accvgpr_write_b32 a117, v25
	v_add_f64 v[2:3], v[152:153], -v[180:181]
	v_mul_f64 v[26:27], v[10:11], s[30:31]
	v_accvgpr_write_b32 a116, v24
	v_fma_f64 v[24:25], v[6:7], s[30:31], -v[24:25]
	s_mov_b32 s54, s16
	v_add_f64 v[0:1], v[24:25], v[0:1]
	v_fma_f64 v[24:25], s[42:43], v[2:3], v[26:27]
	v_add_f64 v[18:19], v[24:25], v[18:19]
	v_mul_f64 v[24:25], v[212:213], s[54:55]
	v_accvgpr_write_b32 a121, v27
	v_accvgpr_write_b32 a141, v25
	;; [unrolled: 1-line block ×3, first 2 shown]
	v_mul_f64 v[26:27], v[10:11], s[2:3]
	v_accvgpr_write_b32 a140, v24
	v_fma_f64 v[24:25], v[6:7], s[2:3], -v[24:25]
	v_add_f64 v[24:25], v[24:25], v[12:13]
	v_fma_f64 v[12:13], s[54:55], v[2:3], v[26:27]
	v_add_f64 v[20:21], v[12:13], v[20:21]
	v_mul_f64 v[12:13], v[212:213], s[20:21]
	v_mul_f64 v[32:33], v[10:11], s[10:11]
	v_accvgpr_write_b32 a175, v13
	v_accvgpr_write_b32 a92, v216
	;; [unrolled: 1-line block ×4, first 2 shown]
	v_fma_f64 v[12:13], v[6:7], s[10:11], -v[12:13]
	v_accvgpr_write_b32 a177, v33
	v_accvgpr_write_b32 a93, v217
	;; [unrolled: 1-line block ×4, first 2 shown]
	v_add_f64 v[216:217], v[158:159], -v[178:179]
	v_accvgpr_write_b32 a162, v26
	v_add_f64 v[26:27], v[12:13], v[16:17]
	v_accvgpr_write_b32 a176, v32
	v_fma_f64 v[12:13], s[20:21], v[2:3], v[32:33]
	v_mul_f64 v[32:33], v[216:217], s[46:47]
	v_add_f64 v[22:23], v[12:13], v[22:23]
	v_add_f64 v[12:13], v[176:177], v[156:157]
	;; [unrolled: 1-line block ×3, first 2 shown]
	v_accvgpr_write_b32 a123, v33
	v_add_f64 v[16:17], v[156:157], -v[176:177]
	v_mul_f64 v[34:35], v[214:215], s[18:19]
	v_accvgpr_write_b32 a122, v32
	v_fma_f64 v[32:33], v[12:13], s[18:19], -v[32:33]
	v_add_f64 v[32:33], v[32:33], v[0:1]
	v_fma_f64 v[0:1], s[46:47], v[16:17], v[34:35]
	s_mov_b32 s45, 0xbfd71e95
	s_mov_b32 s44, s50
	v_add_f64 v[18:19], v[0:1], v[18:19]
	v_mul_f64 v[0:1], v[216:217], s[44:45]
	v_accvgpr_write_b32 a133, v35
	v_accvgpr_write_b32 a153, v1
	;; [unrolled: 1-line block ×3, first 2 shown]
	v_mul_f64 v[34:35], v[214:215], s[38:39]
	v_accvgpr_write_b32 a152, v0
	v_fma_f64 v[0:1], v[12:13], s[38:39], -v[0:1]
	v_add_f64 v[24:25], v[0:1], v[24:25]
	v_fma_f64 v[0:1], s[44:45], v[16:17], v[34:35]
	s_mov_b32 s49, 0xbfe0d888
	s_mov_b32 s48, s42
	v_add_f64 v[20:21], v[0:1], v[20:21]
	v_mul_f64 v[0:1], v[216:217], s[48:49]
	v_accvgpr_write_b32 a173, v35
	v_accvgpr_write_b32 a181, v1
	;; [unrolled: 1-line block ×3, first 2 shown]
	v_mul_f64 v[34:35], v[214:215], s[30:31]
	v_accvgpr_write_b32 a180, v0
	v_fma_f64 v[0:1], v[12:13], s[30:31], -v[0:1]
	v_add_f64 v[238:239], v[162:163], -v[174:175]
	s_mov_b32 s57, 0x3feca52d
	s_mov_b32 s56, s20
	v_add_f64 v[26:27], v[0:1], v[26:27]
	v_accvgpr_write_b32 a185, v35
	v_fma_f64 v[0:1], s[48:49], v[16:17], v[34:35]
	v_mul_f64 v[36:37], v[238:239], s[56:57]
	v_accvgpr_write_b32 a184, v34
	v_add_f64 v[34:35], v[0:1], v[22:23]
	v_add_f64 v[0:1], v[160:161], v[172:173]
	;; [unrolled: 1-line block ×3, first 2 shown]
	v_accvgpr_write_b32 a139, v37
	v_add_f64 v[22:23], v[160:161], -v[172:173]
	v_mul_f64 v[38:39], v[218:219], s[10:11]
	v_accvgpr_write_b32 a138, v36
	v_fma_f64 v[36:37], v[0:1], s[10:11], -v[36:37]
	v_add_f64 v[32:33], v[36:37], v[32:33]
	v_fma_f64 v[36:37], s[56:57], v[22:23], v[38:39]
	v_add_f64 v[36:37], v[36:37], v[18:19]
	v_mul_f64 v[18:19], v[238:239], s[22:23]
	v_accvgpr_write_b32 a147, v39
	v_accvgpr_write_b32 a169, v19
	;; [unrolled: 1-line block ×3, first 2 shown]
	v_mul_f64 v[38:39], v[218:219], s[14:15]
	v_accvgpr_write_b32 a168, v18
	v_fma_f64 v[18:19], v[0:1], s[14:15], -v[18:19]
	v_add_f64 v[24:25], v[18:19], v[24:25]
	v_accvgpr_write_b32 a183, v39
	v_fma_f64 v[18:19], s[22:23], v[22:23], v[38:39]
	s_mov_b32 s58, s34
	v_accvgpr_write_b32 a182, v38
	v_add_f64 v[38:39], v[18:19], v[20:21]
	v_mul_f64 v[18:19], v[238:239], s[58:59]
	v_accvgpr_write_b32 a189, v19
	v_mul_f64 v[20:21], v[218:219], s[24:25]
	v_accvgpr_write_b32 a188, v18
	v_fma_f64 v[18:19], v[0:1], s[24:25], -v[18:19]
	v_add_f64 v[220:221], v[166:167], -v[170:171]
	v_add_f64 v[26:27], v[18:19], v[26:27]
	v_accvgpr_write_b32 a201, v21
	v_fma_f64 v[18:19], s[58:59], v[22:23], v[20:21]
	v_mul_f64 v[40:41], v[220:221], s[50:51]
	v_accvgpr_write_b32 a200, v20
	v_add_f64 v[34:35], v[18:19], v[34:35]
	v_add_f64 v[18:19], v[164:165], v[168:169]
	;; [unrolled: 1-line block ×3, first 2 shown]
	v_accvgpr_write_b32 a149, v41
	v_add_f64 v[222:223], v[164:165], -v[168:169]
	v_mul_f64 v[42:43], v[20:21], s[38:39]
	v_accvgpr_write_b32 a148, v40
	v_fma_f64 v[40:41], v[18:19], s[38:39], -v[40:41]
	v_add_f64 v[192:193], v[40:41], v[32:33]
	v_fma_f64 v[32:33], s[50:51], v[222:223], v[42:43]
	v_add_f64 v[194:195], v[32:33], v[36:37]
	v_mul_f64 v[32:33], v[220:221], s[48:49]
	v_accvgpr_write_b32 a179, v33
	v_mul_f64 v[36:37], v[20:21], s[30:31]
	v_accvgpr_write_b32 a178, v32
	v_fma_f64 v[32:33], v[18:19], s[30:31], -v[32:33]
	v_add_f64 v[196:197], v[32:33], v[24:25]
	v_fma_f64 v[24:25], s[48:49], v[222:223], v[36:37]
	v_accvgpr_write_b32 a187, v37
	v_add_f64 v[198:199], v[24:25], v[38:39]
	v_mul_f64 v[24:25], v[220:221], s[54:55]
	v_accvgpr_write_b32 a186, v36
	v_mul_f64 v[36:37], v[20:21], s[2:3]
	v_fma_f64 v[32:33], v[18:19], s[2:3], -v[24:25]
	v_add_f64 v[188:189], v[32:33], v[26:27]
	v_fma_f64 v[26:27], s[54:55], v[222:223], v[36:37]
	v_add_f64 v[190:191], v[26:27], v[34:35]
	v_mul_f64 v[26:27], v[236:237], s[42:43]
	v_fma_f64 v[32:33], v[250:251], s[30:31], -v[26:27]
	v_add_f64 v[32:33], v[32:33], v[30:31]
	v_mul_f64 v[30:31], v[252:253], s[30:31]
	v_fma_f64 v[34:35], s[42:43], v[204:205], v[30:31]
	v_mul_f64 v[228:229], v[208:209], s[54:55]
	v_add_f64 v[28:29], v[34:35], v[28:29]
	v_fma_f64 v[34:35], v[254:255], s[2:3], -v[228:229]
	v_accvgpr_write_b32 a207, v37
	v_add_f64 v[32:33], v[34:35], v[32:33]
	v_mul_f64 v[34:35], v[206:207], s[2:3]
	v_accvgpr_write_b32 a206, v36
	v_fma_f64 v[36:37], s[54:55], v[4:5], v[34:35]
	v_mul_f64 v[230:231], v[8:9], s[20:21]
	v_add_f64 v[28:29], v[36:37], v[28:29]
	v_fma_f64 v[36:37], v[240:241], s[10:11], -v[230:231]
	v_mul_f64 v[38:39], v[210:211], s[10:11]
	v_add_f64 v[32:33], v[36:37], v[32:33]
	v_fma_f64 v[36:37], s[20:21], v[14:15], v[38:39]
	v_add_f64 v[36:37], v[36:37], v[28:29]
	v_mul_f64 v[28:29], v[212:213], s[36:37]
	v_accvgpr_write_b32 a165, v43
	v_fma_f64 v[40:41], v[6:7], s[28:29], -v[28:29]
	v_accvgpr_write_b32 a164, v42
	v_add_f64 v[42:43], v[40:41], v[32:33]
	v_mul_f64 v[40:41], v[10:11], s[28:29]
	v_fma_f64 v[32:33], s[36:37], v[2:3], v[40:41]
	s_mov_b32 s61, 0x3fefdd0d
	s_mov_b32 s60, s22
	v_add_f64 v[36:37], v[32:33], v[36:37]
	v_mul_f64 v[32:33], v[216:217], s[60:61]
	v_fma_f64 v[44:45], v[12:13], s[14:15], -v[32:33]
	v_add_f64 v[44:45], v[44:45], v[42:43]
	v_mul_f64 v[42:43], v[214:215], s[14:15]
	v_fma_f64 v[46:47], s[60:61], v[16:17], v[42:43]
	v_add_f64 v[46:47], v[46:47], v[36:37]
	v_mul_f64 v[36:37], v[238:239], s[44:45]
	v_fma_f64 v[200:201], v[0:1], s[38:39], -v[36:37]
	v_add_f64 v[200:201], v[200:201], v[44:45]
	v_mul_f64 v[44:45], v[218:219], s[38:39]
	v_fma_f64 v[202:203], s[44:45], v[22:23], v[44:45]
	v_mul_f64 v[234:235], v[220:221], s[34:35]
	v_add_f64 v[202:203], v[202:203], v[46:47]
	v_fma_f64 v[46:47], v[18:19], s[24:25], -v[234:235]
	v_add_f64 v[200:201], v[46:47], v[200:201]
	v_mul_f64 v[46:47], v[20:21], s[24:25]
	v_fma_f64 v[224:225], s[34:35], v[222:223], v[46:47]
	v_add_f64 v[202:203], v[224:225], v[202:203]
	s_barrier
	s_and_saveexec_b64 s[40:41], vcc
	s_cbranch_execz .LBB0_17
; %bb.16:
	v_mul_f64 v[224:225], v[248:249], s[36:37]
	v_accvgpr_write_b32 a214, v227          ;  Reload Reuse
	v_accvgpr_write_b32 a199, v51
	v_accvgpr_write_b32 a215, v226          ;  Reload Reuse
	v_accvgpr_write_b32 a2, v227
	v_fma_f64 v[226:227], s[28:29], v[244:245], v[224:225]
	v_accvgpr_write_b32 a198, v50
	v_mul_f64 v[50:51], v[204:205], s[50:51]
	v_add_f64 v[226:227], v[134:135], v[226:227]
	v_accvgpr_write_b32 a0, v232
	v_fma_f64 v[232:233], s[38:39], v[252:253], v[50:51]
	v_add_f64 v[226:227], v[232:233], v[226:227]
	v_mul_f64 v[232:233], v[4:5], s[48:49]
	v_accvgpr_write_b32 a205, v57
	v_accvgpr_write_b32 a203, v59
	;; [unrolled: 1-line block ×3, first 2 shown]
	v_fma_f64 v[56:57], s[30:31], v[206:207], v[232:233]
	v_accvgpr_write_b32 a202, v58
	v_mul_f64 v[58:59], v[14:15], s[54:55]
	v_add_f64 v[56:57], v[56:57], v[226:227]
	v_fma_f64 v[226:227], s[2:3], v[210:211], v[58:59]
	v_add_f64 v[56:57], v[226:227], v[56:57]
	v_mul_f64 v[226:227], v[2:3], s[34:35]
	v_accvgpr_write_b32 a56, v60
	v_accvgpr_write_b32 a57, v61
	;; [unrolled: 1-line block ×4, first 2 shown]
	v_fma_f64 v[60:61], s[24:25], v[10:11], v[226:227]
	v_add_f64 v[56:57], v[60:61], v[56:57]
	v_mul_f64 v[60:61], v[16:17], s[56:57]
	v_fma_f64 v[62:63], s[10:11], v[214:215], v[60:61]
	v_add_f64 v[56:57], v[62:63], v[56:57]
	v_mul_f64 v[62:63], v[22:23], s[26:27]
	v_accvgpr_write_b32 a5, v64
	v_accvgpr_write_b32 a54, v65
	v_fma_f64 v[64:65], s[18:19], v[218:219], v[62:63]
	v_add_f64 v[56:57], v[64:65], v[56:57]
	v_mul_f64 v[64:65], v[246:247], s[36:37]
	v_accvgpr_write_b32 a213, v25
	v_accvgpr_write_b32 a55, v66
	;; [unrolled: 1-line block ×3, first 2 shown]
	v_fma_f64 v[66:67], v[242:243], s[28:29], -v[64:65]
	v_accvgpr_write_b32 a212, v24
	v_mul_f64 v[24:25], v[236:237], s[50:51]
	v_accvgpr_write_b32 a60, v68
	v_add_f64 v[66:67], v[132:133], v[66:67]
	v_accvgpr_write_b32 a61, v69
	v_accvgpr_write_b32 a62, v70
	;; [unrolled: 1-line block ×3, first 2 shown]
	v_fma_f64 v[68:69], v[250:251], s[38:39], -v[24:25]
	v_add_f64 v[66:67], v[68:69], v[66:67]
	v_mul_f64 v[68:69], v[208:209], s[48:49]
	v_fma_f64 v[70:71], v[254:255], s[30:31], -v[68:69]
	v_add_f64 v[66:67], v[70:71], v[66:67]
	v_mul_f64 v[70:71], v[8:9], s[54:55]
	v_accvgpr_write_b32 a64, v72
	v_accvgpr_write_b32 a65, v73
	;; [unrolled: 1-line block ×4, first 2 shown]
	v_fma_f64 v[72:73], v[240:241], s[2:3], -v[70:71]
	v_add_f64 v[66:67], v[72:73], v[66:67]
	v_mul_f64 v[72:73], v[212:213], s[34:35]
	v_fma_f64 v[74:75], v[6:7], s[24:25], -v[72:73]
	v_add_f64 v[66:67], v[74:75], v[66:67]
	v_mul_f64 v[74:75], v[216:217], s[56:57]
	v_accvgpr_write_b32 a80, v76
	v_fma_f64 v[76:77], v[12:13], s[10:11], -v[74:75]
	v_add_f64 v[66:67], v[76:77], v[66:67]
	v_mul_f64 v[76:77], v[238:239], s[26:27]
	v_accvgpr_write_b32 a85, v81
	v_accvgpr_write_b32 a84, v80
	;; [unrolled: 1-line block ×4, first 2 shown]
	v_fma_f64 v[78:79], v[0:1], s[18:19], -v[76:77]
	v_add_f64 v[66:67], v[78:79], v[66:67]
	v_mul_f64 v[78:79], v[222:223], s[60:61]
	v_fma_f64 v[80:81], s[14:15], v[20:21], v[78:79]
	v_accvgpr_write_b32 a161, v87
	v_accvgpr_write_b32 a160, v86
	;; [unrolled: 1-line block ×4, first 2 shown]
	v_add_f64 v[86:87], v[80:81], v[56:57]
	v_mul_f64 v[56:57], v[220:221], s[60:61]
	v_fma_f64 v[80:81], v[18:19], s[14:15], -v[56:57]
	v_add_f64 v[84:85], v[80:81], v[66:67]
	v_fma_f64 v[66:67], v[244:245], s[28:29], -v[224:225]
	v_fma_f64 v[50:51], v[252:253], s[38:39], -v[50:51]
	v_add_f64 v[66:67], v[134:135], v[66:67]
	v_add_f64 v[50:51], v[50:51], v[66:67]
	v_fma_f64 v[66:67], v[206:207], s[30:31], -v[232:233]
	v_add_f64 v[50:51], v[66:67], v[50:51]
	v_fma_f64 v[58:59], v[210:211], s[2:3], -v[58:59]
	;; [unrolled: 2-line block ×5, first 2 shown]
	v_fmac_f64_e32 v[64:65], s[28:29], v[242:243]
	v_add_f64 v[50:51], v[58:59], v[50:51]
	v_fmac_f64_e32 v[24:25], s[38:39], v[250:251]
	v_add_f64 v[58:59], v[132:133], v[64:65]
	v_add_f64 v[24:25], v[24:25], v[58:59]
	v_fmac_f64_e32 v[68:69], s[30:31], v[254:255]
	v_add_f64 v[24:25], v[68:69], v[24:25]
	v_fmac_f64_e32 v[70:71], s[2:3], v[240:241]
	;; [unrolled: 2-line block ×4, first 2 shown]
	v_accvgpr_write_b32 a157, v87
	v_add_f64 v[24:25], v[74:75], v[24:25]
	v_fmac_f64_e32 v[76:77], s[18:19], v[0:1]
	v_fma_f64 v[58:59], v[20:21], s[14:15], -v[78:79]
	v_accvgpr_write_b32 a156, v86
	v_accvgpr_write_b32 a155, v85
	;; [unrolled: 1-line block ×3, first 2 shown]
	v_accvgpr_read_b32 v84, a158
	v_add_f64 v[24:25], v[76:77], v[24:25]
	v_add_f64 v[58:59], v[58:59], v[50:51]
	v_fmac_f64_e32 v[56:57], s[14:15], v[18:19]
	v_accvgpr_read_b32 v85, a159
	v_accvgpr_read_b32 v86, a160
	;; [unrolled: 1-line block ×3, first 2 shown]
	v_add_f64 v[56:57], v[56:57], v[24:25]
	v_accvgpr_write_b32 a161, v59
	v_mul_f64 v[24:25], v[248:249], s[48:49]
	v_accvgpr_write_b32 a160, v58
	v_accvgpr_write_b32 a159, v57
	;; [unrolled: 1-line block ×3, first 2 shown]
	v_fma_f64 v[50:51], s[30:31], v[244:245], v[24:25]
	v_mul_f64 v[56:57], v[204:205], s[56:57]
	v_add_f64 v[50:51], v[134:135], v[50:51]
	v_fma_f64 v[58:59], s[10:11], v[252:253], v[56:57]
	v_add_f64 v[50:51], v[58:59], v[50:51]
	v_mul_f64 v[58:59], v[4:5], s[22:23]
	v_fma_f64 v[60:61], s[14:15], v[206:207], v[58:59]
	v_add_f64 v[50:51], v[60:61], v[50:51]
	v_mul_f64 v[60:61], v[14:15], s[58:59]
	;; [unrolled: 3-line block ×6, first 2 shown]
	v_fma_f64 v[70:71], v[242:243], s[30:31], -v[68:69]
	v_mul_f64 v[72:73], v[236:237], s[56:57]
	v_add_f64 v[70:71], v[132:133], v[70:71]
	v_fma_f64 v[74:75], v[250:251], s[10:11], -v[72:73]
	v_add_f64 v[70:71], v[74:75], v[70:71]
	v_mul_f64 v[74:75], v[208:209], s[22:23]
	v_fma_f64 v[76:77], v[254:255], s[14:15], -v[74:75]
	v_add_f64 v[70:71], v[76:77], v[70:71]
	v_mul_f64 v[76:77], v[8:9], s[58:59]
	v_fma_f64 v[24:25], v[244:245], s[30:31], -v[24:25]
	v_fma_f64 v[78:79], v[240:241], s[24:25], -v[76:77]
	;; [unrolled: 1-line block ×3, first 2 shown]
	v_add_f64 v[24:25], v[134:135], v[24:25]
	v_add_f64 v[70:71], v[78:79], v[70:71]
	v_mul_f64 v[78:79], v[212:213], s[44:45]
	v_add_f64 v[24:25], v[56:57], v[24:25]
	v_fma_f64 v[56:57], v[206:207], s[14:15], -v[58:59]
	v_fma_f64 v[80:81], v[6:7], s[38:39], -v[78:79]
	v_add_f64 v[24:25], v[56:57], v[24:25]
	v_fma_f64 v[56:57], v[210:211], s[24:25], -v[60:61]
	v_add_f64 v[70:71], v[80:81], v[70:71]
	v_mul_f64 v[80:81], v[216:217], s[36:37]
	v_add_f64 v[24:25], v[56:57], v[24:25]
	v_fma_f64 v[56:57], v[10:11], s[38:39], -v[62:63]
	v_mov_b32_e32 v232, v82
	v_fma_f64 v[82:83], v[12:13], s[28:29], -v[80:81]
	v_add_f64 v[24:25], v[56:57], v[24:25]
	v_fma_f64 v[56:57], v[214:215], s[28:29], -v[64:65]
	v_add_f64 v[70:71], v[82:83], v[70:71]
	v_mul_f64 v[82:83], v[238:239], s[54:55]
	v_add_f64 v[24:25], v[56:57], v[24:25]
	v_fma_f64 v[56:57], v[218:219], s[2:3], -v[66:67]
	v_fmac_f64_e32 v[68:69], s[30:31], v[242:243]
	v_fma_f64 v[224:225], v[0:1], s[2:3], -v[82:83]
	v_add_f64 v[24:25], v[56:57], v[24:25]
	v_fmac_f64_e32 v[72:73], s[10:11], v[250:251]
	v_add_f64 v[56:57], v[132:133], v[68:69]
	v_add_f64 v[70:71], v[224:225], v[70:71]
	v_mul_f64 v[224:225], v[222:223], s[26:27]
	v_add_f64 v[56:57], v[72:73], v[56:57]
	v_fmac_f64_e32 v[74:75], s[14:15], v[254:255]
	v_fma_f64 v[226:227], s[18:19], v[20:21], v[224:225]
	v_accvgpr_write_b32 a197, v91
	v_add_f64 v[56:57], v[74:75], v[56:57]
	v_fmac_f64_e32 v[76:77], s[24:25], v[240:241]
	v_accvgpr_write_b32 a196, v90
	v_accvgpr_write_b32 a195, v89
	;; [unrolled: 1-line block ×3, first 2 shown]
	v_add_f64 v[90:91], v[226:227], v[50:51]
	v_mul_f64 v[50:51], v[220:221], s[26:27]
	v_add_f64 v[56:57], v[76:77], v[56:57]
	v_fmac_f64_e32 v[78:79], s[38:39], v[6:7]
	v_fma_f64 v[226:227], v[18:19], s[18:19], -v[50:51]
	v_add_f64 v[56:57], v[78:79], v[56:57]
	v_fmac_f64_e32 v[80:81], s[28:29], v[12:13]
	v_add_f64 v[88:89], v[226:227], v[70:71]
	v_accvgpr_write_b32 a193, v91
	v_add_f64 v[56:57], v[80:81], v[56:57]
	v_fmac_f64_e32 v[82:83], s[2:3], v[0:1]
	v_fma_f64 v[58:59], v[20:21], s[18:19], -v[224:225]
	v_accvgpr_write_b32 a192, v90
	v_accvgpr_write_b32 a191, v89
	;; [unrolled: 1-line block ×3, first 2 shown]
	v_accvgpr_read_b32 v88, a194
	v_add_f64 v[56:57], v[82:83], v[56:57]
	v_add_f64 v[58:59], v[58:59], v[24:25]
	v_fmac_f64_e32 v[50:51], s[18:19], v[18:19]
	v_accvgpr_read_b32 v89, a195
	v_accvgpr_read_b32 v90, a196
	;; [unrolled: 1-line block ×3, first 2 shown]
	v_add_f64 v[56:57], v[50:51], v[56:57]
	v_accvgpr_write_b32 a197, v59
	v_mul_f64 v[24:25], v[248:249], s[34:35]
	v_accvgpr_write_b32 a196, v58
	v_accvgpr_write_b32 a195, v57
	;; [unrolled: 1-line block ×3, first 2 shown]
	v_fma_f64 v[50:51], s[24:25], v[244:245], v[24:25]
	v_mul_f64 v[56:57], v[204:205], s[46:47]
	v_add_f64 v[50:51], v[134:135], v[50:51]
	v_fma_f64 v[58:59], s[18:19], v[252:253], v[56:57]
	v_add_f64 v[50:51], v[58:59], v[50:51]
	v_mul_f64 v[58:59], v[4:5], s[44:45]
	v_fma_f64 v[60:61], s[38:39], v[206:207], v[58:59]
	v_add_f64 v[50:51], v[60:61], v[50:51]
	v_mul_f64 v[60:61], v[14:15], s[48:49]
	;; [unrolled: 3-line block ×6, first 2 shown]
	v_fma_f64 v[70:71], v[242:243], s[24:25], -v[68:69]
	v_mul_f64 v[72:73], v[236:237], s[46:47]
	v_add_f64 v[70:71], v[132:133], v[70:71]
	v_fma_f64 v[74:75], v[250:251], s[18:19], -v[72:73]
	v_add_f64 v[70:71], v[74:75], v[70:71]
	v_mul_f64 v[74:75], v[208:209], s[44:45]
	v_fma_f64 v[76:77], v[254:255], s[38:39], -v[74:75]
	v_add_f64 v[70:71], v[76:77], v[70:71]
	v_mul_f64 v[76:77], v[8:9], s[48:49]
	;; [unrolled: 3-line block ×4, first 2 shown]
	v_fma_f64 v[24:25], v[244:245], s[24:25], -v[24:25]
	v_fma_f64 v[82:83], v[12:13], s[2:3], -v[80:81]
	v_fma_f64 v[56:57], v[252:253], s[18:19], -v[56:57]
	v_add_f64 v[24:25], v[134:135], v[24:25]
	v_add_f64 v[70:71], v[82:83], v[70:71]
	v_mul_f64 v[82:83], v[238:239], s[36:37]
	v_add_f64 v[24:25], v[56:57], v[24:25]
	v_fma_f64 v[56:57], v[206:207], s[38:39], -v[58:59]
	v_fma_f64 v[224:225], v[0:1], s[28:29], -v[82:83]
	v_add_f64 v[24:25], v[56:57], v[24:25]
	v_fma_f64 v[56:57], v[210:211], s[30:31], -v[60:61]
	v_add_f64 v[70:71], v[224:225], v[70:71]
	v_mul_f64 v[224:225], v[222:223], s[56:57]
	v_add_f64 v[24:25], v[56:57], v[24:25]
	v_fma_f64 v[56:57], v[10:11], s[14:15], -v[62:63]
	v_fma_f64 v[226:227], s[10:11], v[20:21], v[224:225]
	v_accvgpr_write_b32 a211, v95
	v_add_f64 v[24:25], v[56:57], v[24:25]
	v_fma_f64 v[56:57], v[214:215], s[2:3], -v[64:65]
	v_accvgpr_write_b32 a210, v94
	v_accvgpr_write_b32 a209, v93
	;; [unrolled: 1-line block ×3, first 2 shown]
	v_add_f64 v[94:95], v[226:227], v[50:51]
	v_mul_f64 v[50:51], v[220:221], s[56:57]
	v_add_f64 v[24:25], v[56:57], v[24:25]
	v_fma_f64 v[56:57], v[218:219], s[28:29], -v[66:67]
	v_fmac_f64_e32 v[68:69], s[24:25], v[242:243]
	v_fma_f64 v[226:227], v[18:19], s[10:11], -v[50:51]
	v_add_f64 v[24:25], v[56:57], v[24:25]
	v_fmac_f64_e32 v[72:73], s[18:19], v[250:251]
	v_add_f64 v[56:57], v[132:133], v[68:69]
	v_fma_f64 v[58:59], v[20:21], s[10:11], -v[224:225]
	v_add_f64 v[92:93], v[226:227], v[70:71]
	v_add_f64 v[56:57], v[72:73], v[56:57]
	v_fmac_f64_e32 v[74:75], s[38:39], v[254:255]
	v_add_f64 v[226:227], v[58:59], v[24:25]
	v_mul_f64 v[24:25], v[222:223], s[34:35]
	v_add_f64 v[56:57], v[74:75], v[56:57]
	v_fmac_f64_e32 v[76:77], s[30:31], v[240:241]
	v_add_f64 v[24:25], v[46:47], -v[24:25]
	v_mul_f64 v[46:47], v[22:23], s[44:45]
	v_add_f64 v[56:57], v[76:77], v[56:57]
	v_fmac_f64_e32 v[78:79], s[14:15], v[6:7]
	v_add_f64 v[44:45], v[44:45], -v[46:47]
	;; [unrolled: 4-line block ×5, first 2 shown]
	v_mul_f64 v[46:47], v[4:5], s[54:55]
	v_add_f64 v[224:225], v[50:51], v[56:57]
	v_add_f64 v[34:35], v[34:35], -v[46:47]
	v_mul_f64 v[46:47], v[204:205], s[42:43]
	v_accvgpr_read_b32 v50, a134
	v_add_f64 v[30:31], v[30:31], -v[46:47]
	v_mul_f64 v[46:47], v[248:249], s[26:27]
	v_accvgpr_read_b32 v51, a135
	v_add_f64 v[46:47], v[50:51], -v[46:47]
	v_add_f64 v[46:47], v[134:135], v[46:47]
	v_add_f64 v[30:31], v[30:31], v[46:47]
	v_add_f64 v[30:31], v[34:35], v[30:31]
	v_add_f64 v[30:31], v[38:39], v[30:31]
	v_add_f64 v[30:31], v[40:41], v[30:31]
	v_add_f64 v[30:31], v[42:43], v[30:31]
	v_add_f64 v[30:31], v[44:45], v[30:31]
	v_mul_f64 v[42:43], v[250:251], s[30:31]
	v_accvgpr_read_b32 v44, a124
	v_mul_f64 v[38:39], v[0:1], s[38:39]
	v_add_f64 v[26:27], v[42:43], v[26:27]
	v_mul_f64 v[42:43], v[242:243], s[18:19]
	v_accvgpr_read_b32 v45, a125
	v_add_f64 v[36:37], v[38:39], v[36:37]
	v_mul_f64 v[38:39], v[12:13], s[14:15]
	v_add_f64 v[42:43], v[42:43], v[44:45]
	v_add_f64 v[32:33], v[38:39], v[32:33]
	v_mul_f64 v[38:39], v[6:7], s[28:29]
	v_mul_f64 v[40:41], v[254:255], s[2:3]
	v_add_f64 v[42:43], v[132:133], v[42:43]
	v_add_f64 v[28:29], v[38:39], v[28:29]
	v_mul_f64 v[38:39], v[240:241], s[10:11]
	v_add_f64 v[40:41], v[40:41], v[228:229]
	v_add_f64 v[26:27], v[26:27], v[42:43]
	;; [unrolled: 1-line block ×6, first 2 shown]
	v_mul_f64 v[34:35], v[18:19], s[24:25]
	v_add_f64 v[26:27], v[32:33], v[26:27]
	v_add_f64 v[34:35], v[34:35], v[234:235]
	;; [unrolled: 1-line block ×4, first 2 shown]
	v_accvgpr_read_b32 v26, a206
	v_add_f64 v[230:231], v[24:25], v[30:31]
	v_mul_f64 v[24:25], v[222:223], s[54:55]
	v_accvgpr_read_b32 v27, a207
	v_accvgpr_read_b32 v28, a200
	v_add_f64 v[24:25], v[26:27], -v[24:25]
	v_mul_f64 v[26:27], v[22:23], s[58:59]
	v_accvgpr_read_b32 v29, a201
	v_accvgpr_read_b32 v30, a184
	v_add_f64 v[26:27], v[28:29], -v[26:27]
	;; [unrolled: 4-line block ×7, first 2 shown]
	v_mul_f64 v[38:39], v[248:249], s[22:23]
	v_accvgpr_read_b32 v41, a115
	v_add_f64 v[38:39], v[40:41], -v[38:39]
	v_add_f64 v[38:39], v[134:135], v[38:39]
	v_add_f64 v[36:37], v[36:37], v[38:39]
	;; [unrolled: 1-line block ×6, first 2 shown]
	v_accvgpr_read_b32 v30, a212
	v_add_f64 v[26:27], v[26:27], v[28:29]
	v_mul_f64 v[28:29], v[18:19], s[2:3]
	v_accvgpr_read_b32 v31, a213
	v_accvgpr_read_b32 v32, a188
	v_add_f64 v[28:29], v[28:29], v[30:31]
	v_mul_f64 v[30:31], v[0:1], s[24:25]
	v_accvgpr_read_b32 v33, a189
	;; [unrolled: 4-line block ×8, first 2 shown]
	v_add_f64 v[42:43], v[42:43], v[44:45]
	v_add_f64 v[42:43], v[132:133], v[42:43]
	;; [unrolled: 1-line block ×9, first 2 shown]
	v_accvgpr_read_b32 v26, a186
	v_mov_b32_e32 v82, v232
	v_add_f64 v[232:233], v[28:29], v[30:31]
	v_mul_f64 v[24:25], v[222:223], s[48:49]
	v_accvgpr_read_b32 v27, a187
	v_accvgpr_read_b32 v30, a182
	v_add_f64 v[24:25], v[26:27], -v[24:25]
	v_mul_f64 v[26:27], v[22:23], s[22:23]
	v_accvgpr_read_b32 v31, a183
	v_accvgpr_read_b32 v32, a172
	v_add_f64 v[26:27], v[30:31], -v[26:27]
	;; [unrolled: 4-line block ×7, first 2 shown]
	v_mul_f64 v[40:41], v[248:249], s[20:21]
	v_accvgpr_read_b32 v43, a101
	v_add_f64 v[40:41], v[42:43], -v[40:41]
	v_add_f64 v[40:41], v[134:135], v[40:41]
	v_add_f64 v[38:39], v[38:39], v[40:41]
	;; [unrolled: 1-line block ×6, first 2 shown]
	v_accvgpr_read_b32 v44, a178
	v_add_f64 v[26:27], v[26:27], v[30:31]
	v_mul_f64 v[30:31], v[18:19], s[30:31]
	v_accvgpr_read_b32 v45, a179
	v_accvgpr_read_b32 v46, a168
	v_add_f64 v[30:31], v[30:31], v[44:45]
	v_mul_f64 v[44:45], v[0:1], s[14:15]
	v_accvgpr_read_b32 v47, a169
	;; [unrolled: 4-line block ×3, first 2 shown]
	v_accvgpr_read_b32 v56, a140
	v_accvgpr_read_b32 v64, a90
	v_mul_f64 v[40:41], v[242:243], s[10:11]
	v_add_f64 v[46:47], v[46:47], v[50:51]
	v_mul_f64 v[50:51], v[6:7], s[2:3]
	v_accvgpr_read_b32 v57, a141
	v_accvgpr_read_b32 v58, a128
	;; [unrolled: 1-line block ×4, first 2 shown]
	v_mul_f64 v[34:35], v[250:251], s[24:25]
	v_add_f64 v[50:51], v[50:51], v[56:57]
	v_mul_f64 v[56:57], v[240:241], s[18:19]
	v_accvgpr_read_b32 v59, a129
	v_accvgpr_read_b32 v60, a118
	;; [unrolled: 1-line block ×3, first 2 shown]
	v_add_f64 v[40:41], v[40:41], v[64:65]
	v_add_f64 v[56:57], v[56:57], v[58:59]
	v_mul_f64 v[58:59], v[254:255], s[28:29]
	v_accvgpr_read_b32 v61, a119
	v_add_f64 v[34:35], v[34:35], v[62:63]
	v_add_f64 v[40:41], v[132:133], v[40:41]
	;; [unrolled: 1-line block ×9, first 2 shown]
	v_accvgpr_read_b32 v66, a164
	v_add_f64 v[26:27], v[24:25], v[26:27]
	v_add_f64 v[24:25], v[30:31], v[34:35]
	v_mul_f64 v[30:31], v[222:223], s[50:51]
	v_accvgpr_read_b32 v67, a165
	v_add_f64 v[30:31], v[66:67], -v[30:31]
	v_accvgpr_read_b32 v66, a146
	v_mul_f64 v[44:45], v[22:23], s[56:57]
	v_accvgpr_read_b32 v67, a147
	v_add_f64 v[44:45], v[66:67], -v[44:45]
	v_accvgpr_read_b32 v66, a132
	;; [unrolled: 4-line block ×7, first 2 shown]
	v_mul_f64 v[42:43], v[248:249], s[16:17]
	v_accvgpr_read_b32 v67, a205
	v_add_f64 v[42:43], v[66:67], -v[42:43]
	v_add_f64 v[42:43], v[134:135], v[42:43]
	v_add_f64 v[36:37], v[36:37], v[42:43]
	v_add_f64 v[36:37], v[60:61], v[36:37]
	v_add_f64 v[36:37], v[64:65], v[36:37]
	v_add_f64 v[36:37], v[58:59], v[36:37]
	v_add_f64 v[36:37], v[50:51], v[36:37]
	v_add_f64 v[36:37], v[44:45], v[36:37]
	v_add_f64 v[30:31], v[30:31], v[36:37]
	v_accvgpr_read_b32 v36, a148
	v_mul_f64 v[34:35], v[18:19], s[38:39]
	v_accvgpr_read_b32 v37, a149
	v_add_f64 v[34:35], v[34:35], v[36:37]
	v_accvgpr_read_b32 v36, a138
	v_mul_f64 v[46:47], v[0:1], s[10:11]
	v_accvgpr_read_b32 v37, a139
	v_add_f64 v[36:37], v[46:47], v[36:37]
	;; [unrolled: 4-line block ×4, first 2 shown]
	v_accvgpr_read_b32 v46, a198
	v_mul_f64 v[28:29], v[242:243], s[2:3]
	v_accvgpr_read_b32 v44, a116
	v_accvgpr_read_b32 v47, a199
	v_mul_f64 v[40:41], v[6:7], s[30:31]
	v_accvgpr_read_b32 v42, a122
	v_accvgpr_read_b32 v45, a117
	v_add_f64 v[28:29], v[28:29], v[46:47]
	v_mul_f64 v[56:57], v[12:13], s[18:19]
	v_accvgpr_read_b32 v43, a123
	v_add_f64 v[40:41], v[40:41], v[44:45]
	v_accvgpr_read_b32 v44, a106
	v_add_f64 v[28:29], v[132:133], v[28:29]
	v_mul_f64 v[62:63], v[240:241], s[28:29]
	v_add_f64 v[42:43], v[56:57], v[42:43]
	v_accvgpr_read_b32 v45, a107
	v_add_f64 v[28:29], v[38:39], v[28:29]
	v_mul_f64 v[56:57], v[248:249], s[44:45]
	v_add_f64 v[44:45], v[62:63], v[44:45]
	v_add_f64 v[28:29], v[32:33], v[28:29]
	v_mul_f64 v[46:47], v[204:205], s[16:17]
	v_fma_f64 v[58:59], s[38:39], v[244:245], v[56:57]
	v_add_f64 v[28:29], v[44:45], v[28:29]
	v_mul_f64 v[44:45], v[4:5], s[20:21]
	v_fma_f64 v[50:51], s[2:3], v[252:253], v[46:47]
	v_add_f64 v[58:59], v[134:135], v[58:59]
	v_add_f64 v[28:29], v[40:41], v[28:29]
	v_mul_f64 v[14:15], v[14:15], s[22:23]
	v_fma_f64 v[4:5], s[10:11], v[206:207], v[44:45]
	v_add_f64 v[50:51], v[50:51], v[58:59]
	;; [unrolled: 4-line block ×3, first 2 shown]
	v_mul_f64 v[16:17], v[16:17], s[34:35]
	v_fma_f64 v[2:3], s[18:19], v[10:11], v[40:41]
	v_add_f64 v[4:5], v[42:43], v[4:5]
	v_mul_f64 v[22:23], v[22:23], s[48:49]
	v_fma_f64 v[38:39], s[24:25], v[214:215], v[16:17]
	v_add_f64 v[2:3], v[2:3], v[4:5]
	v_add_f64 v[28:29], v[36:37], v[28:29]
	v_fma_f64 v[36:37], s[30:31], v[218:219], v[22:23]
	v_add_f64 v[2:3], v[38:39], v[2:3]
	v_mul_f64 v[72:73], v[246:247], s[44:45]
	v_add_f64 v[2:3], v[36:37], v[2:3]
	v_mul_f64 v[36:37], v[238:239], s[48:49]
	v_mul_f64 v[68:69], v[236:237], s[16:17]
	v_fma_f64 v[74:75], v[242:243], s[38:39], -v[72:73]
	v_fmac_f64_e32 v[72:73], s[38:39], v[242:243]
	v_fma_f64 v[38:39], v[0:1], s[30:31], -v[36:37]
	v_mul_f64 v[64:65], v[208:209], s[20:21]
	v_fma_f64 v[70:71], v[250:251], s[2:3], -v[68:69]
	v_fmac_f64_e32 v[36:37], s[30:31], v[0:1]
	v_fmac_f64_e32 v[68:69], s[2:3], v[250:251]
	v_add_f64 v[0:1], v[132:133], v[72:73]
	v_mul_f64 v[62:63], v[8:9], s[22:23]
	v_fma_f64 v[66:67], v[254:255], s[10:11], -v[64:65]
	v_fmac_f64_e32 v[64:65], s[10:11], v[254:255]
	v_add_f64 v[0:1], v[68:69], v[0:1]
	v_mul_f64 v[58:59], v[212:213], s[26:27]
	v_fma_f64 v[8:9], v[240:241], s[14:15], -v[62:63]
	v_fmac_f64_e32 v[62:63], s[14:15], v[240:241]
	v_add_f64 v[0:1], v[64:65], v[0:1]
	v_mul_f64 v[32:33], v[222:223], s[36:37]
	v_mul_f64 v[42:43], v[216:217], s[34:35]
	v_fma_f64 v[60:61], v[6:7], s[18:19], -v[58:59]
	v_fmac_f64_e32 v[58:59], s[18:19], v[6:7]
	v_add_f64 v[0:1], v[62:63], v[0:1]
	v_add_f64 v[28:29], v[34:35], v[28:29]
	v_fma_f64 v[34:35], s[28:29], v[20:21], v[32:33]
	v_fma_f64 v[50:51], v[12:13], s[24:25], -v[42:43]
	v_fmac_f64_e32 v[42:43], s[24:25], v[12:13]
	v_add_f64 v[0:1], v[58:59], v[0:1]
	v_add_f64 v[4:5], v[34:35], v[2:3]
	v_mul_f64 v[34:35], v[220:221], s[36:37]
	v_add_f64 v[0:1], v[42:43], v[0:1]
	v_fma_f64 v[2:3], v[18:19], s[28:29], -v[34:35]
	v_add_f64 v[74:75], v[132:133], v[74:75]
	v_fmac_f64_e32 v[34:35], s[28:29], v[18:19]
	v_add_f64 v[0:1], v[36:37], v[0:1]
	v_add_f64 v[70:71], v[70:71], v[74:75]
	;; [unrolled: 1-line block ×13, first 2 shown]
	v_fma_f64 v[38:39], v[244:245], s[38:39], -v[56:57]
	v_add_f64 v[0:1], v[158:159], v[0:1]
	v_add_f64 v[2:3], v[2:3], v[8:9]
	v_fma_f64 v[8:9], v[20:21], s[28:29], -v[32:33]
	v_fma_f64 v[32:33], v[252:253], s[2:3], -v[46:47]
	v_add_f64 v[38:39], v[134:135], v[38:39]
	v_add_f64 v[0:1], v[162:163], v[0:1]
	v_fma_f64 v[20:21], v[218:219], s[30:31], -v[22:23]
	;; [unrolled: 4-line block ×3, first 2 shown]
	v_add_f64 v[22:23], v[22:23], v[32:33]
	v_add_f64 v[0:1], v[170:171], v[0:1]
	v_fma_f64 v[10:11], v[10:11], s[18:19], -v[40:41]
	v_add_f64 v[14:15], v[14:15], v[22:23]
	v_add_f64 v[0:1], v[174:175], v[0:1]
	v_fma_f64 v[16:17], v[214:215], s[24:25], -v[16:17]
	v_add_f64 v[10:11], v[10:11], v[14:15]
	v_add_f64 v[0:1], v[178:179], v[0:1]
	;; [unrolled: 1-line block ×8, first 2 shown]
	v_accvgpr_read_b32 v10, a92
	v_add_f64 v[0:1], v[130:131], v[0:1]
	v_accvgpr_read_b32 v12, a94
	v_accvgpr_read_b32 v13, a95
	v_add_f64 v[12:13], v[12:13], v[0:1]
	v_add_f64 v[0:1], v[132:133], v[136:137]
	;; [unrolled: 1-line block ×15, first 2 shown]
	v_accvgpr_read_b32 v11, a93
	v_add_f64 v[0:1], v[128:129], v[0:1]
	v_add_f64 v[10:11], v[10:11], v[0:1]
	v_accvgpr_read_b32 v1, a214             ;  Reload Reuse
	v_accvgpr_read_b32 v0, a215             ;  Reload Reuse
	v_mul_lo_u16_e32 v0, 17, v0
	v_accvgpr_read_b32 v1, a1
	v_lshl_add_u32 v0, v0, 4, v1
	v_accvgpr_read_b32 v78, a82
	v_accvgpr_read_b32 v75, a67
	;; [unrolled: 1-line block ×4, first 2 shown]
	ds_write_b128 v0, v[10:13]
	ds_write_b128 v0, v[6:9] offset:16
	ds_write_b128 v0, v[28:31] offset:32
	ds_write_b128 v0, v[24:27] offset:48
	ds_write_b128 v0, v[232:235] offset:64
	ds_write_b128 v0, v[228:231] offset:80
	ds_write_b128 v0, v[224:227] offset:96
	v_accvgpr_read_b32 v227, a214           ;  Reload Reuse
	ds_write_b128 v0, a[194:197] offset:112
	ds_write_b128 v0, a[158:161] offset:128
	;; [unrolled: 1-line block ×5, first 2 shown]
	v_accvgpr_read_b32 v92, a208
	v_accvgpr_read_b32 v76, a80
	;; [unrolled: 1-line block ×19, first 2 shown]
	v_accvgpr_read_b32 v226, a215           ;  Reload Reuse
	v_accvgpr_read_b32 v227, a2
	v_accvgpr_read_b32 v93, a209
	;; [unrolled: 1-line block ×4, first 2 shown]
	ds_write_b128 v0, v[200:203] offset:192
	ds_write_b128 v0, v[188:191] offset:208
	;; [unrolled: 1-line block ×5, first 2 shown]
.LBB0_17:
	s_or_b64 exec, exec, s[40:41]
	s_waitcnt lgkmcnt(0)
	s_barrier
	ds_read_b128 v[128:131], v48
	ds_read_b128 v[124:127], v48 offset:1088
	ds_read_b128 v[156:159], v48 offset:7616
	;; [unrolled: 1-line block ×11, first 2 shown]
	s_and_saveexec_b64 s[2:3], s[0:1]
	s_cbranch_execz .LBB0_19
; %bb.18:
	ds_read_b128 v[200:203], v48 offset:3264
	ds_read_b128 v[188:191], v48 offset:7072
	;; [unrolled: 1-line block ×4, first 2 shown]
.LBB0_19:
	s_or_b64 exec, exec, s[2:3]
	v_accvgpr_read_b32 v10, a22
	v_accvgpr_read_b32 v12, a24
	;; [unrolled: 1-line block ×5, first 2 shown]
	s_waitcnt lgkmcnt(7)
	v_mul_f64 v[4:5], v[12:13], v[166:167]
	v_mul_f64 v[6:7], v[12:13], v[164:165]
	v_accvgpr_read_b32 v16, a20
	v_accvgpr_read_b32 v17, a21
	;; [unrolled: 1-line block ×3, first 2 shown]
	v_fmac_f64_e32 v[4:5], v[10:11], v[164:165]
	v_fma_f64 v[6:7], v[10:11], v[166:167], -v[6:7]
	v_accvgpr_read_b32 v15, a19
	v_mul_f64 v[10:11], v[16:17], v[158:159]
	v_mul_f64 v[12:13], v[16:17], v[156:157]
	v_accvgpr_read_b32 v20, a36
	v_accvgpr_read_b32 v21, a37
	v_accvgpr_read_b32 v24, a38
	v_fmac_f64_e32 v[10:11], v[14:15], v[156:157]
	v_fma_f64 v[12:13], v[14:15], v[158:159], -v[12:13]
	v_accvgpr_read_b32 v19, a35
	s_waitcnt lgkmcnt(3)
	v_mul_f64 v[14:15], v[20:21], v[162:163]
	v_mul_f64 v[16:17], v[20:21], v[160:161]
	v_accvgpr_read_b32 v26, a40
	v_accvgpr_read_b32 v27, a41
	;; [unrolled: 1-line block ×3, first 2 shown]
	v_fmac_f64_e32 v[14:15], v[18:19], v[160:161]
	v_fma_f64 v[16:17], v[18:19], v[162:163], -v[16:17]
	v_accvgpr_read_b32 v25, a39
	v_mul_f64 v[22:23], v[26:27], v[154:155]
	v_mul_f64 v[18:19], v[26:27], v[152:153]
	v_accvgpr_read_b32 v30, a32
	v_accvgpr_read_b32 v31, a33
	v_accvgpr_read_b32 v35, a29
	v_fmac_f64_e32 v[22:23], v[24:25], v[152:153]
	v_fma_f64 v[24:25], v[24:25], v[154:155], -v[18:19]
	v_accvgpr_read_b32 v29, a31
	v_mul_f64 v[26:27], v[30:31], v[146:147]
	v_mul_f64 v[18:19], v[30:31], v[144:145]
	v_accvgpr_read_b32 v34, a28
	v_fmac_f64_e32 v[26:27], v[28:29], v[144:145]
	v_fma_f64 v[28:29], v[28:29], v[146:147], -v[18:19]
	s_waitcnt lgkmcnt(1)
	v_mul_f64 v[30:31], v[34:35], v[150:151]
	v_mul_f64 v[18:19], v[34:35], v[148:149]
	v_accvgpr_read_b32 v34, a46
	v_accvgpr_read_b32 v33, a27
	;; [unrolled: 1-line block ×5, first 2 shown]
	v_fmac_f64_e32 v[30:31], v[32:33], v[148:149]
	v_fma_f64 v[32:33], v[32:33], v[150:151], -v[18:19]
	v_accvgpr_read_b32 v35, a47
	v_mul_f64 v[38:39], v[36:37], v[142:143]
	v_mul_f64 v[18:19], v[36:37], v[140:141]
	v_fmac_f64_e32 v[38:39], v[34:35], v[140:141]
	v_fma_f64 v[40:41], v[34:35], v[142:143], -v[18:19]
	v_accvgpr_read_b32 v34, a42
	v_accvgpr_read_b32 v36, a44
	;; [unrolled: 1-line block ×4, first 2 shown]
	v_mul_f64 v[42:43], v[36:37], v[138:139]
	v_mul_f64 v[18:19], v[36:37], v[136:137]
	v_fmac_f64_e32 v[42:43], v[34:35], v[136:137]
	v_fma_f64 v[44:45], v[34:35], v[138:139], -v[18:19]
	v_accvgpr_read_b32 v34, a50
	v_accvgpr_read_b32 v36, a52
	;; [unrolled: 1-line block ×4, first 2 shown]
	s_waitcnt lgkmcnt(0)
	v_mul_f64 v[46:47], v[36:37], v[134:135]
	v_mul_f64 v[18:19], v[36:37], v[132:133]
	v_fmac_f64_e32 v[46:47], v[34:35], v[132:133]
	v_fma_f64 v[50:51], v[34:35], v[134:135], -v[18:19]
	v_add_f64 v[36:37], v[126:127], -v[28:29]
	v_add_f64 v[56:57], v[22:23], -v[30:31]
	;; [unrolled: 1-line block ×7, first 2 shown]
	v_fma_f64 v[22:23], v[22:23], 2.0, -v[56:57]
	v_add_f64 v[32:33], v[36:37], -v[56:57]
	v_add_f64 v[56:57], v[0:1], -v[42:43]
	;; [unrolled: 1-line block ×5, first 2 shown]
	v_fma_f64 v[10:11], v[128:129], 2.0, -v[18:19]
	v_fma_f64 v[12:13], v[130:131], 2.0, -v[20:21]
	;; [unrolled: 1-line block ×4, first 2 shown]
	v_add_f64 v[16:17], v[20:21], -v[34:35]
	v_add_f64 v[34:35], v[124:125], -v[26:27]
	v_fma_f64 v[42:43], v[0:1], 2.0, -v[56:57]
	v_fma_f64 v[44:45], v[2:3], 2.0, -v[58:59]
	v_fma_f64 v[0:1], v[38:39], 2.0, -v[46:47]
	v_fma_f64 v[2:3], v[40:41], 2.0, -v[50:51]
	v_add_f64 v[4:5], v[10:11], -v[4:5]
	v_add_f64 v[6:7], v[12:13], -v[6:7]
	v_fma_f64 v[26:27], v[124:125], 2.0, -v[34:35]
	v_fma_f64 v[28:29], v[126:127], 2.0, -v[36:37]
	;; [unrolled: 1-line block ×3, first 2 shown]
	v_add_f64 v[0:1], v[42:43], -v[0:1]
	v_add_f64 v[2:3], v[44:45], -v[2:3]
	v_add_u32_e32 v8, 0x440, v49
	v_fma_f64 v[10:11], v[10:11], 2.0, -v[4:5]
	v_fma_f64 v[12:13], v[12:13], 2.0, -v[6:7]
	v_add_f64 v[14:15], v[18:19], v[14:15]
	v_add_f64 v[22:23], v[26:27], -v[22:23]
	v_add_f64 v[24:25], v[28:29], -v[24:25]
	v_add_f64 v[30:31], v[34:35], v[30:31]
	v_fma_f64 v[38:39], v[42:43], 2.0, -v[0:1]
	v_fma_f64 v[40:41], v[44:45], 2.0, -v[2:3]
	v_add_f64 v[42:43], v[56:57], v[50:51]
	v_add_f64 v[44:45], v[58:59], -v[46:47]
	v_fma_f64 v[18:19], v[18:19], 2.0, -v[14:15]
	v_fma_f64 v[20:21], v[20:21], 2.0, -v[16:17]
	;; [unrolled: 1-line block ×8, first 2 shown]
	s_barrier
	ds_write_b128 v64, v[10:13]
	ds_write_b128 v64, v[18:21] offset:272
	ds_write_b128 v64, v[4:7] offset:544
	ds_write_b128 v64, v[14:17] offset:816
	ds_write_b128 v65, v[26:29]
	ds_write_b128 v65, v[34:37] offset:272
	ds_write_b128 v65, v[22:25] offset:544
	ds_write_b128 v65, v[30:33] offset:816
	;; [unrolled: 4-line block ×3, first 2 shown]
	s_and_saveexec_b64 s[2:3], s[0:1]
	s_cbranch_execz .LBB0_21
; %bb.20:
	v_accvgpr_read_b32 v33, a17
	v_accvgpr_read_b32 v32, a16
	;; [unrolled: 1-line block ×4, first 2 shown]
	v_mul_f64 v[0:1], v[32:33], v[196:197]
	v_accvgpr_read_b32 v29, a13
	v_accvgpr_read_b32 v25, a9
	v_fma_f64 v[0:1], v[30:31], v[198:199], -v[0:1]
	v_accvgpr_read_b32 v28, a12
	v_accvgpr_read_b32 v24, a8
	v_add_f64 v[10:11], v[202:203], -v[0:1]
	v_accvgpr_read_b32 v27, a11
	v_accvgpr_read_b32 v26, a10
	v_mul_f64 v[14:15], v[28:29], v[190:191]
	v_accvgpr_read_b32 v23, a7
	v_accvgpr_read_b32 v22, a6
	v_mul_f64 v[0:1], v[24:25], v[194:195]
	v_fmac_f64_e32 v[14:15], v[26:27], v[188:189]
	v_fmac_f64_e32 v[0:1], v[22:23], v[192:193]
	v_add_f64 v[18:19], v[14:15], -v[0:1]
	v_mul_f64 v[0:1], v[32:33], v[198:199]
	v_fmac_f64_e32 v[0:1], v[30:31], v[196:197]
	v_add_f64 v[20:21], v[200:201], -v[0:1]
	v_mul_f64 v[0:1], v[28:29], v[188:189]
	v_fma_f64 v[12:13], v[26:27], v[190:191], -v[0:1]
	v_mul_f64 v[0:1], v[24:25], v[192:193]
	v_fma_f64 v[0:1], v[22:23], v[194:195], -v[0:1]
	v_add_f64 v[2:3], v[10:11], -v[18:19]
	v_add_f64 v[16:17], v[12:13], -v[0:1]
	v_fma_f64 v[6:7], v[10:11], 2.0, -v[2:3]
	v_fma_f64 v[10:11], v[202:203], 2.0, -v[10:11]
	;; [unrolled: 1-line block ×3, first 2 shown]
	v_add_f64 v[0:1], v[20:21], v[16:17]
	v_add_f64 v[12:13], v[10:11], -v[12:13]
	v_fma_f64 v[4:5], v[20:21], 2.0, -v[0:1]
	v_fma_f64 v[16:17], v[10:11], 2.0, -v[12:13]
	;; [unrolled: 1-line block ×4, first 2 shown]
	s_movk_i32 s0, 0x44
	v_accvgpr_read_b32 v9, a3
	v_add_f64 v[10:11], v[20:21], -v[10:11]
	v_mad_legacy_u16 v9, v227, s0, v9
	v_accvgpr_read_b32 v18, a1
	v_fma_f64 v[14:15], v[20:21], 2.0, -v[10:11]
	v_lshl_add_u32 v9, v9, 4, v18
	ds_write_b128 v9, v[14:17]
	ds_write_b128 v9, v[4:7] offset:272
	ds_write_b128 v9, v[10:13] offset:544
	;; [unrolled: 1-line block ×3, first 2 shown]
.LBB0_21:
	s_or_b64 exec, exec, s[2:3]
	s_waitcnt lgkmcnt(0)
	s_barrier
	ds_read_b128 v[0:3], v48 offset:7616
	ds_read_b128 v[4:7], v48
	ds_read_b128 v[10:13], v48 offset:1088
	ds_read_b128 v[14:17], v48 offset:8704
	;; [unrolled: 1-line block ×12, first 2 shown]
	s_waitcnt lgkmcnt(13)
	v_mul_f64 v[46:47], v[54:55], v[2:3]
	v_fmac_f64_e32 v[46:47], v[52:53], v[0:1]
	v_mul_f64 v[0:1], v[54:55], v[0:1]
	v_fma_f64 v[2:3], v[52:53], v[2:3], -v[0:1]
	s_waitcnt lgkmcnt(10)
	v_mul_f64 v[50:51], v[54:55], v[16:17]
	v_mul_f64 v[0:1], v[54:55], v[14:15]
	v_accvgpr_read_b32 v54, a72
	v_accvgpr_read_b32 v56, a74
	;; [unrolled: 1-line block ×3, first 2 shown]
	v_fmac_f64_e32 v[50:51], v[52:53], v[14:15]
	v_fma_f64 v[16:17], v[52:53], v[16:17], -v[0:1]
	s_waitcnt lgkmcnt(9)
	v_mul_f64 v[52:53], v[56:57], v[20:21]
	v_mul_f64 v[0:1], v[56:57], v[18:19]
	v_accvgpr_read_b32 v56, a68
	v_accvgpr_read_b32 v55, a73
	;; [unrolled: 1-line block ×4, first 2 shown]
	v_fma_f64 v[20:21], v[54:55], v[20:21], -v[0:1]
	v_accvgpr_read_b32 v57, a69
	s_waitcnt lgkmcnt(6)
	v_mul_f64 v[0:1], v[58:59], v[30:31]
	v_fmac_f64_e32 v[52:53], v[54:55], v[18:19]
	v_mul_f64 v[54:55], v[58:59], v[32:33]
	v_fma_f64 v[32:33], v[56:57], v[32:33], -v[0:1]
	s_waitcnt lgkmcnt(5)
	v_mul_f64 v[0:1], v[70:71], v[34:35]
	v_fmac_f64_e32 v[54:55], v[56:57], v[30:31]
	v_mul_f64 v[56:57], v[70:71], v[36:37]
	v_fma_f64 v[36:37], v[68:69], v[36:37], -v[0:1]
	s_waitcnt lgkmcnt(1)
	v_mul_f64 v[58:59], v[62:63], v[130:131]
	v_mul_f64 v[0:1], v[62:63], v[128:129]
	v_fmac_f64_e32 v[58:59], v[60:61], v[128:129]
	v_fma_f64 v[60:61], v[60:61], v[130:131], -v[0:1]
	s_waitcnt lgkmcnt(0)
	v_mul_f64 v[0:1], v[74:75], v[132:133]
	v_fma_f64 v[64:65], v[72:73], v[134:135], -v[0:1]
	v_add_f64 v[0:1], v[4:5], -v[46:47]
	v_add_f64 v[2:3], v[6:7], -v[2:3]
	v_fmac_f64_e32 v[56:57], v[68:69], v[34:35]
	v_mul_f64 v[62:63], v[74:75], v[134:135]
	v_fma_f64 v[4:5], v[4:5], 2.0, -v[0:1]
	v_fma_f64 v[6:7], v[6:7], 2.0, -v[2:3]
	v_add_f64 v[14:15], v[10:11], -v[50:51]
	v_add_f64 v[16:17], v[12:13], -v[16:17]
	;; [unrolled: 1-line block ×6, first 2 shown]
	v_fmac_f64_e32 v[62:63], v[72:73], v[132:133]
	v_fma_f64 v[10:11], v[10:11], 2.0, -v[14:15]
	v_fma_f64 v[12:13], v[12:13], 2.0, -v[16:17]
	;; [unrolled: 1-line block ×6, first 2 shown]
	v_add_f64 v[34:35], v[38:39], -v[56:57]
	v_add_f64 v[36:37], v[40:41], -v[36:37]
	s_barrier
	ds_write_b128 v48, v[4:7]
	ds_write_b128 v48, v[0:3] offset:1088
	ds_write_b128 v48, v[10:13] offset:2176
	;; [unrolled: 1-line block ×5, first 2 shown]
	v_accvgpr_read_b32 v0, a77
	v_fma_f64 v[38:39], v[38:39], 2.0, -v[34:35]
	v_fma_f64 v[40:41], v[40:41], 2.0, -v[36:37]
	v_add_f64 v[52:53], v[42:43], -v[58:59]
	v_add_f64 v[54:55], v[44:45], -v[60:61]
	;; [unrolled: 1-line block ×4, first 2 shown]
	ds_write_b128 v0, v[26:29] offset:6528
	ds_write_b128 v0, v[30:33] offset:7616
	v_accvgpr_read_b32 v0, a78
	v_fma_f64 v[42:43], v[42:43], 2.0, -v[52:53]
	v_fma_f64 v[44:45], v[44:45], 2.0, -v[54:55]
	v_fma_f64 v[60:61], v[124:125], 2.0, -v[56:57]
	v_fma_f64 v[62:63], v[126:127], 2.0, -v[58:59]
	ds_write_b128 v0, v[38:41] offset:8704
	ds_write_b128 v0, v[34:37] offset:9792
	v_accvgpr_read_b32 v0, a79
	ds_write_b128 v0, v[42:45] offset:10880
	ds_write_b128 v0, v[52:55] offset:11968
	;; [unrolled: 1-line block ×4, first 2 shown]
	s_waitcnt lgkmcnt(0)
	s_barrier
	ds_read_b128 v[4:7], v48
	ds_read_b128 v[0:3], v48 offset:1088
	ds_read_b128 v[10:13], v48 offset:2176
	;; [unrolled: 1-line block ×13, first 2 shown]
	s_waitcnt lgkmcnt(11)
	v_mul_f64 v[46:47], v[90:91], v[12:13]
	v_fmac_f64_e32 v[46:47], v[88:89], v[10:11]
	v_mul_f64 v[10:11], v[90:91], v[10:11]
	v_fma_f64 v[10:11], v[88:89], v[12:13], -v[10:11]
	s_waitcnt lgkmcnt(9)
	v_mul_f64 v[12:13], v[86:87], v[20:21]
	v_accvgpr_read_b32 v64, a86
	v_fmac_f64_e32 v[12:13], v[84:85], v[18:19]
	v_mul_f64 v[18:19], v[86:87], v[18:19]
	v_accvgpr_read_b32 v66, a88
	v_accvgpr_read_b32 v67, a89
	v_fma_f64 v[18:19], v[84:85], v[20:21], -v[18:19]
	v_accvgpr_read_b32 v65, a87
	s_waitcnt lgkmcnt(7)
	v_mul_f64 v[20:21], v[66:67], v[28:29]
	v_fmac_f64_e32 v[20:21], v[64:65], v[26:27]
	v_mul_f64 v[26:27], v[66:67], v[26:27]
	v_fma_f64 v[26:27], v[64:65], v[28:29], -v[26:27]
	s_waitcnt lgkmcnt(5)
	v_mul_f64 v[28:29], v[80:81], v[36:37]
	v_fmac_f64_e32 v[28:29], v[78:79], v[34:35]
	v_mul_f64 v[34:35], v[80:81], v[34:35]
	v_fma_f64 v[34:35], v[78:79], v[36:37], -v[34:35]
	;; [unrolled: 5-line block ×3, first 2 shown]
	s_waitcnt lgkmcnt(1)
	v_mul_f64 v[44:45], v[94:95], v[58:59]
	v_fmac_f64_e32 v[44:45], v[92:93], v[56:57]
	v_mul_f64 v[50:51], v[94:95], v[56:57]
	v_mul_f64 v[56:57], v[114:115], v[16:17]
	v_fmac_f64_e32 v[56:57], v[112:113], v[14:15]
	v_mul_f64 v[14:15], v[114:115], v[14:15]
	v_fma_f64 v[50:51], v[92:93], v[58:59], -v[50:51]
	v_fma_f64 v[58:59], v[112:113], v[16:17], -v[14:15]
	v_mul_f64 v[14:15], v[110:111], v[22:23]
	v_fma_f64 v[66:67], v[108:109], v[24:25], -v[14:15]
	v_mul_f64 v[14:15], v[106:107], v[30:31]
	;; [unrolled: 2-line block ×3, first 2 shown]
	v_mul_f64 v[14:15], v[102:103], v[38:39]
	v_fmac_f64_e32 v[72:73], v[100:101], v[38:39]
	v_fma_f64 v[38:39], v[100:101], v[40:41], -v[14:15]
	v_mul_f64 v[40:41], v[122:123], v[54:55]
	v_mul_f64 v[14:15], v[122:123], v[52:53]
	v_fmac_f64_e32 v[40:41], v[120:121], v[52:53]
	v_fma_f64 v[52:53], v[120:121], v[54:55], -v[14:15]
	s_waitcnt lgkmcnt(0)
	v_mul_f64 v[54:55], v[118:119], v[62:63]
	v_mul_f64 v[14:15], v[118:119], v[60:61]
	;; [unrolled: 1-line block ×4, first 2 shown]
	v_fmac_f64_e32 v[54:55], v[116:117], v[60:61]
	v_fma_f64 v[60:61], v[116:117], v[62:63], -v[14:15]
	v_add_f64 v[14:15], v[46:47], v[44:45]
	v_add_f64 v[24:25], v[12:13], v[36:37]
	v_fmac_f64_e32 v[68:69], v[104:105], v[30:31]
	v_add_f64 v[16:17], v[10:11], v[50:51]
	v_add_f64 v[30:31], v[18:19], v[42:43]
	;; [unrolled: 1-line block ×3, first 2 shown]
	v_add_f64 v[20:21], v[28:29], -v[20:21]
	v_add_f64 v[28:29], v[24:25], v[14:15]
	v_add_f64 v[12:13], v[12:13], -v[36:37]
	v_add_f64 v[36:37], v[26:27], v[34:35]
	;; [unrolled: 2-line block ×3, first 2 shown]
	v_add_f64 v[28:29], v[32:33], v[28:29]
	v_add_f64 v[18:19], v[18:19], -v[42:43]
	v_add_f64 v[42:43], v[24:25], -v[14:15]
	;; [unrolled: 1-line block ×4, first 2 shown]
	v_add_f64 v[32:33], v[36:37], v[34:35]
	v_add_f64 v[4:5], v[4:5], v[28:29]
	s_mov_b32 s2, 0x37e14327
	s_mov_b32 s0, 0x36b3c0b5
	;; [unrolled: 1-line block ×4, first 2 shown]
	v_fmac_f64_e32 v[64:65], v[108:109], v[22:23]
	v_add_f64 v[22:23], v[46:47], -v[44:45]
	v_add_f64 v[10:11], v[10:11], -v[50:51]
	;; [unrolled: 1-line block ×5, first 2 shown]
	v_add_f64 v[46:47], v[20:21], v[12:13]
	v_add_f64 v[50:51], v[26:27], v[18:19]
	v_add_f64 v[62:63], v[20:21], -v[12:13]
	v_add_f64 v[74:75], v[26:27], -v[18:19]
	v_add_f64 v[6:7], v[6:7], v[32:33]
	s_mov_b32 s3, 0x3fe948f6
	s_mov_b32 s1, 0x3fac98ee
	;; [unrolled: 1-line block ×5, first 2 shown]
	v_mov_b64_e32 v[76:77], v[4:5]
	s_mov_b32 s18, 0x5476071b
	s_mov_b32 s22, 0xb247c609
	v_add_f64 v[20:21], v[22:23], -v[20:21]
	v_add_f64 v[26:27], v[10:11], -v[26:27]
	;; [unrolled: 1-line block ×4, first 2 shown]
	v_add_f64 v[22:23], v[46:47], v[22:23]
	v_add_f64 v[10:11], v[50:51], v[10:11]
	v_mul_f64 v[14:15], v[14:15], s[2:3]
	v_mul_f64 v[16:17], v[16:17], s[2:3]
	;; [unrolled: 1-line block ×6, first 2 shown]
	s_mov_b32 s11, 0xbfebfeb5
	v_fmac_f64_e32 v[76:77], s[16:17], v[28:29]
	v_mov_b64_e32 v[28:29], v[6:7]
	s_mov_b32 s19, 0x3fe77f67
	s_mov_b32 s21, 0xbfe77f67
	;; [unrolled: 1-line block ×5, first 2 shown]
	v_mul_f64 v[62:63], v[12:13], s[10:11]
	v_mul_f64 v[74:75], v[18:19], s[10:11]
	v_fmac_f64_e32 v[28:29], s[16:17], v[32:33]
	v_fma_f64 v[32:33], v[42:43], s[18:19], -v[34:35]
	v_fma_f64 v[34:35], v[44:45], s[18:19], -v[36:37]
	;; [unrolled: 1-line block ×3, first 2 shown]
	v_fmac_f64_e32 v[14:15], s[0:1], v[24:25]
	v_fma_f64 v[24:25], v[44:45], s[20:21], -v[16:17]
	v_fmac_f64_e32 v[16:17], s[0:1], v[30:31]
	v_fma_f64 v[30:31], v[12:13], s[10:11], -v[46:47]
	;; [unrolled: 2-line block ×3, first 2 shown]
	s_mov_b32 s27, 0x3fd5d0dc
	s_mov_b32 s26, s22
	;; [unrolled: 1-line block ×3, first 2 shown]
	v_fmac_f64_e32 v[50:51], s[22:23], v[26:27]
	v_fma_f64 v[44:45], v[20:21], s[26:27], -v[62:63]
	v_fma_f64 v[26:27], v[26:27], s[26:27], -v[74:75]
	v_add_f64 v[74:75], v[16:17], v[28:29]
	v_add_f64 v[32:33], v[32:33], v[76:77]
	;; [unrolled: 1-line block ×3, first 2 shown]
	v_fmac_f64_e32 v[46:47], s[24:25], v[22:23]
	v_fmac_f64_e32 v[30:31], s[24:25], v[22:23]
	v_fmac_f64_e32 v[42:43], s[24:25], v[10:11]
	v_add_f64 v[62:63], v[14:15], v[76:77]
	v_add_f64 v[36:37], v[36:37], v[76:77]
	;; [unrolled: 1-line block ×3, first 2 shown]
	v_fmac_f64_e32 v[50:51], s[24:25], v[10:11]
	v_fmac_f64_e32 v[44:45], s[24:25], v[22:23]
	;; [unrolled: 1-line block ×3, first 2 shown]
	v_add_f64 v[12:13], v[74:75], -v[46:47]
	v_add_f64 v[18:19], v[32:33], -v[42:43]
	v_add_f64 v[20:21], v[30:31], v[34:35]
	v_add_f64 v[22:23], v[42:43], v[32:33]
	v_add_f64 v[24:25], v[34:35], -v[30:31]
	v_add_f64 v[32:33], v[46:47], v[74:75]
	v_add_f64 v[34:35], v[56:57], v[54:55]
	;; [unrolled: 1-line block ×5, first 2 shown]
	v_add_f64 v[16:17], v[28:29], -v[44:45]
	v_add_f64 v[26:27], v[36:37], -v[26:27]
	v_add_f64 v[28:29], v[44:45], v[28:29]
	v_add_f64 v[30:31], v[62:63], -v[50:51]
	v_add_f64 v[36:37], v[58:59], v[60:61]
	v_add_f64 v[42:43], v[56:57], -v[54:55]
	v_add_f64 v[44:45], v[58:59], -v[60:61]
	v_add_f64 v[50:51], v[66:67], v[52:53]
	v_add_f64 v[54:55], v[68:69], v[72:73]
	;; [unrolled: 1-line block ×3, first 2 shown]
	v_add_f64 v[40:41], v[64:65], -v[40:41]
	v_add_f64 v[56:57], v[70:71], v[38:39]
	v_add_f64 v[62:63], v[50:51], v[36:37]
	v_add_f64 v[64:65], v[46:47], -v[34:35]
	v_add_f64 v[34:35], v[34:35], -v[54:55]
	;; [unrolled: 1-line block ×3, first 2 shown]
	v_add_f64 v[54:55], v[54:55], v[60:61]
	v_add_f64 v[52:53], v[66:67], -v[52:53]
	v_add_f64 v[58:59], v[72:73], -v[68:69]
	;; [unrolled: 1-line block ×6, first 2 shown]
	v_add_f64 v[56:57], v[56:57], v[62:63]
	v_add_f64 v[0:1], v[0:1], v[54:55]
	;; [unrolled: 1-line block ×4, first 2 shown]
	v_add_f64 v[72:73], v[58:59], -v[40:41]
	v_add_f64 v[74:75], v[38:39], -v[52:53]
	;; [unrolled: 1-line block ×4, first 2 shown]
	v_add_f64 v[2:3], v[2:3], v[56:57]
	v_mov_b64_e32 v[76:77], v[0:1]
	v_add_f64 v[58:59], v[42:43], -v[58:59]
	v_add_f64 v[38:39], v[44:45], -v[38:39]
	v_add_f64 v[42:43], v[68:69], v[42:43]
	v_add_f64 v[44:45], v[70:71], v[44:45]
	v_mul_f64 v[34:35], v[34:35], s[2:3]
	v_mul_f64 v[36:37], v[36:37], s[2:3]
	;; [unrolled: 1-line block ×8, first 2 shown]
	v_fmac_f64_e32 v[76:77], s[16:17], v[54:55]
	v_mov_b64_e32 v[54:55], v[2:3]
	v_fmac_f64_e32 v[54:55], s[16:17], v[56:57]
	v_fma_f64 v[46:47], s[0:1], v[46:47], v[34:35]
	v_fma_f64 v[56:57], v[64:65], s[18:19], -v[60:61]
	v_fma_f64 v[60:61], v[66:67], s[18:19], -v[62:63]
	;; [unrolled: 1-line block ×4, first 2 shown]
	v_fmac_f64_e32 v[36:37], s[0:1], v[50:51]
	v_fma_f64 v[50:51], s[22:23], v[58:59], v[68:69]
	v_fma_f64 v[64:65], v[40:41], s[10:11], -v[68:69]
	v_fma_f64 v[52:53], v[52:53], s[10:11], -v[70:71]
	v_fmac_f64_e32 v[70:71], s[22:23], v[38:39]
	v_fma_f64 v[58:59], v[58:59], s[26:27], -v[72:73]
	v_fma_f64 v[66:67], v[38:39], s[26:27], -v[74:75]
	v_add_f64 v[46:47], v[46:47], v[76:77]
	v_add_f64 v[68:69], v[36:37], v[54:55]
	;; [unrolled: 1-line block ×6, first 2 shown]
	v_fmac_f64_e32 v[50:51], s[24:25], v[42:43]
	v_fmac_f64_e32 v[70:71], s[24:25], v[44:45]
	;; [unrolled: 1-line block ×6, first 2 shown]
	v_add_f64 v[34:35], v[70:71], v[46:47]
	v_add_f64 v[36:37], v[68:69], -v[50:51]
	v_add_f64 v[38:39], v[66:67], v[72:73]
	v_add_f64 v[40:41], v[62:63], -v[58:59]
	v_add_f64 v[42:43], v[56:57], -v[52:53]
	v_add_f64 v[44:45], v[64:65], v[60:61]
	v_add_f64 v[52:53], v[52:53], v[56:57]
	v_add_f64 v[54:55], v[60:61], -v[64:65]
	v_add_f64 v[56:57], v[72:73], -v[66:67]
	v_add_f64 v[58:59], v[58:59], v[62:63]
	v_add_f64 v[60:61], v[46:47], -v[70:71]
	v_add_f64 v[62:63], v[50:51], v[68:69]
	ds_write_b128 v82, v[4:7]
	ds_write_b128 v49, v[10:13] offset:2176
	ds_write_b128 v49, v[14:17] offset:4352
	;; [unrolled: 1-line block ×13, first 2 shown]
	s_and_b64 s[0:1], exec, vcc
	v_accvgpr_read_b32 v22, a4
	s_waitcnt lgkmcnt(0)
	s_barrier
	s_mov_b64 exec, s[0:1]
	s_cbranch_execz .LBB0_23
; %bb.22:
	global_load_dwordx4 v[2:5], v232, s[8:9]
	v_mad_u64_u32 v[14:15], s[0:1], s6, v22, 0
	v_mad_u64_u32 v[16:17], s[2:3], s4, v226, 0
	ds_read_b128 v[6:9], v82
	ds_read_b128 v[10:13], v49 offset:896
	v_mov_b32_e32 v18, v15
	v_mov_b32_e32 v20, v17
	v_mad_u64_u32 v[18:19], s[2:3], s7, v22, v[18:19]
	v_mov_b32_e32 v0, s12
	v_mov_b32_e32 v1, s13
	v_mad_u64_u32 v[20:21], s[2:3], s5, v226, v[20:21]
	v_mov_b32_e32 v15, v18
	v_mov_b32_e32 v17, v20
	v_lshl_add_u64 v[0:1], v[14:15], 4, v[0:1]
	s_mov_b32 s0, 0x1135c811
	v_lshl_add_u64 v[14:15], v[16:17], 4, v[0:1]
	s_mov_b32 s1, 0x3f5135c8
	s_mul_i32 s2, s5, 0x380
	v_mov_b32_e32 v233, 0
	s_movk_i32 s3, 0x1000
	s_waitcnt vmcnt(0) lgkmcnt(1)
	v_mul_f64 v[16:17], v[8:9], v[4:5]
	v_mul_f64 v[4:5], v[6:7], v[4:5]
	v_fmac_f64_e32 v[16:17], v[6:7], v[2:3]
	v_fma_f64 v[4:5], v[2:3], v[8:9], -v[4:5]
	v_mul_f64 v[2:3], v[16:17], s[0:1]
	v_mul_f64 v[4:5], v[4:5], s[0:1]
	global_store_dwordx4 v[14:15], v[2:5], off
	global_load_dwordx4 v[6:9], v232, s[8:9] offset:896
	s_nop 0
	v_mov_b32_e32 v4, 0x380
	v_mad_u64_u32 v[2:3], s[6:7], s4, v4, v[14:15]
	v_add_u32_e32 v3, s2, v3
	v_or_b32_e32 v5, 0x1c0, v226
	s_waitcnt vmcnt(0) lgkmcnt(0)
	v_mul_f64 v[14:15], v[12:13], v[8:9]
	v_mul_f64 v[8:9], v[10:11], v[8:9]
	v_fmac_f64_e32 v[14:15], v[10:11], v[6:7]
	v_fma_f64 v[8:9], v[6:7], v[12:13], -v[8:9]
	v_mul_f64 v[6:7], v[14:15], s[0:1]
	v_mul_f64 v[8:9], v[8:9], s[0:1]
	global_store_dwordx4 v[2:3], v[6:9], off
	global_load_dwordx4 v[6:9], v232, s[8:9] offset:1792
	ds_read_b128 v[10:13], v49 offset:1792
	ds_read_b128 v[14:17], v49 offset:2688
	v_mad_u64_u32 v[2:3], s[6:7], s4, v4, v[2:3]
	v_add_u32_e32 v3, s2, v3
	s_waitcnt vmcnt(0) lgkmcnt(1)
	v_mul_f64 v[18:19], v[12:13], v[8:9]
	v_mul_f64 v[8:9], v[10:11], v[8:9]
	v_fmac_f64_e32 v[18:19], v[10:11], v[6:7]
	v_fma_f64 v[8:9], v[6:7], v[12:13], -v[8:9]
	v_mul_f64 v[6:7], v[18:19], s[0:1]
	v_mul_f64 v[8:9], v[8:9], s[0:1]
	global_store_dwordx4 v[2:3], v[6:9], off
	global_load_dwordx4 v[6:9], v232, s[8:9] offset:2688
	v_mad_u64_u32 v[18:19], s[6:7], s4, v4, v[2:3]
	v_add_u32_e32 v19, s2, v19
	s_waitcnt vmcnt(0) lgkmcnt(0)
	v_mul_f64 v[2:3], v[16:17], v[8:9]
	v_mul_f64 v[8:9], v[14:15], v[8:9]
	v_fmac_f64_e32 v[2:3], v[14:15], v[6:7]
	v_fma_f64 v[8:9], v[6:7], v[16:17], -v[8:9]
	v_mul_f64 v[6:7], v[2:3], s[0:1]
	v_mul_f64 v[8:9], v[8:9], s[0:1]
	global_store_dwordx4 v[18:19], v[6:9], off
	global_load_dwordx4 v[6:9], v232, s[8:9] offset:3584
	ds_read_b128 v[10:13], v49 offset:3584
	ds_read_b128 v[14:17], v49 offset:4480
	v_lshl_add_u64 v[2:3], s[8:9], 0, v[232:233]
	v_mad_u64_u32 v[18:19], s[6:7], s4, v4, v[18:19]
	v_add_co_u32_e32 v20, vcc, s3, v2
	v_add_u32_e32 v19, s2, v19
	s_nop 0
	v_addc_co_u32_e32 v21, vcc, 0, v3, vcc
	s_mul_i32 s3, s5, 0x700
	s_waitcnt vmcnt(0) lgkmcnt(1)
	v_mul_f64 v[22:23], v[12:13], v[8:9]
	v_mul_f64 v[8:9], v[10:11], v[8:9]
	v_fmac_f64_e32 v[22:23], v[10:11], v[6:7]
	v_fma_f64 v[8:9], v[6:7], v[12:13], -v[8:9]
	v_mul_f64 v[6:7], v[22:23], s[0:1]
	v_mul_f64 v[8:9], v[8:9], s[0:1]
	global_store_dwordx4 v[18:19], v[6:9], off
	global_load_dwordx4 v[6:9], v[20:21], off offset:384
	v_mad_u64_u32 v[18:19], s[6:7], s4, v4, v[18:19]
	v_add_u32_e32 v19, s2, v19
	s_waitcnt vmcnt(0) lgkmcnt(0)
	v_mul_f64 v[10:11], v[16:17], v[8:9]
	v_mul_f64 v[8:9], v[14:15], v[8:9]
	v_fmac_f64_e32 v[10:11], v[14:15], v[6:7]
	v_fma_f64 v[8:9], v[6:7], v[16:17], -v[8:9]
	v_mul_f64 v[6:7], v[10:11], s[0:1]
	v_mul_f64 v[8:9], v[8:9], s[0:1]
	global_store_dwordx4 v[18:19], v[6:9], off
	global_load_dwordx4 v[6:9], v[20:21], off offset:1280
	ds_read_b128 v[10:13], v49 offset:5376
	ds_read_b128 v[14:17], v49 offset:6272
	v_mad_u64_u32 v[18:19], s[6:7], s4, v4, v[18:19]
	v_add_u32_e32 v19, s2, v19
	s_waitcnt vmcnt(0) lgkmcnt(1)
	v_mul_f64 v[22:23], v[12:13], v[8:9]
	v_mul_f64 v[8:9], v[10:11], v[8:9]
	v_fmac_f64_e32 v[22:23], v[10:11], v[6:7]
	v_fma_f64 v[8:9], v[6:7], v[12:13], -v[8:9]
	v_mul_f64 v[6:7], v[22:23], s[0:1]
	v_mul_f64 v[8:9], v[8:9], s[0:1]
	global_store_dwordx4 v[18:19], v[6:9], off
	global_load_dwordx4 v[6:9], v[20:21], off offset:2176
	v_mad_u64_u32 v[18:19], s[6:7], s4, v4, v[18:19]
	v_add_u32_e32 v19, s2, v19
	v_lshlrev_b32_e32 v12, 4, v5
	v_mad_u64_u32 v[22:23], s[6:7], s4, v5, 0
	v_mov_b32_e32 v24, v23
	v_mad_u64_u32 v[24:25], s[6:7], s5, v5, v[24:25]
	v_mov_b32_e32 v23, v24
	v_lshl_add_u64 v[22:23], v[22:23], 4, v[0:1]
	v_mov_b32_e32 v5, 0x700
	s_movk_i32 s6, 0x2000
	s_waitcnt vmcnt(0) lgkmcnt(0)
	v_mul_f64 v[10:11], v[16:17], v[8:9]
	v_mul_f64 v[8:9], v[14:15], v[8:9]
	v_fmac_f64_e32 v[10:11], v[14:15], v[6:7]
	v_fma_f64 v[8:9], v[6:7], v[16:17], -v[8:9]
	v_mul_f64 v[6:7], v[10:11], s[0:1]
	v_mul_f64 v[8:9], v[8:9], s[0:1]
	global_store_dwordx4 v[18:19], v[6:9], off
	global_load_dwordx4 v[6:9], v12, s[8:9]
	ds_read_b128 v[10:13], v49 offset:7168
	ds_read_b128 v[14:17], v49 offset:8064
	s_waitcnt vmcnt(0) lgkmcnt(1)
	v_mul_f64 v[24:25], v[12:13], v[8:9]
	v_mul_f64 v[8:9], v[10:11], v[8:9]
	v_fmac_f64_e32 v[24:25], v[10:11], v[6:7]
	v_fma_f64 v[8:9], v[6:7], v[12:13], -v[8:9]
	v_mul_f64 v[6:7], v[24:25], s[0:1]
	v_mul_f64 v[8:9], v[8:9], s[0:1]
	global_store_dwordx4 v[22:23], v[6:9], off
	global_load_dwordx4 v[6:9], v[20:21], off offset:3968
	v_add_co_u32_e32 v20, vcc, s6, v2
	v_mad_u64_u32 v[18:19], s[6:7], s4, v5, v[18:19]
	v_add_u32_e32 v19, s3, v19
	v_addc_co_u32_e32 v21, vcc, 0, v3, vcc
	s_movk_i32 s3, 0x3000
	v_add_co_u32_e32 v2, vcc, s3, v2
	s_waitcnt vmcnt(0) lgkmcnt(0)
	v_mul_f64 v[10:11], v[16:17], v[8:9]
	v_mul_f64 v[8:9], v[14:15], v[8:9]
	v_fmac_f64_e32 v[10:11], v[14:15], v[6:7]
	v_fma_f64 v[8:9], v[6:7], v[16:17], -v[8:9]
	v_mul_f64 v[6:7], v[10:11], s[0:1]
	v_mul_f64 v[8:9], v[8:9], s[0:1]
	global_store_dwordx4 v[18:19], v[6:9], off
	global_load_dwordx4 v[6:9], v[20:21], off offset:768
	ds_read_b128 v[10:13], v49 offset:8960
	ds_read_b128 v[14:17], v49 offset:9856
	v_mad_u64_u32 v[18:19], s[6:7], s4, v4, v[18:19]
	v_add_u32_e32 v19, s2, v19
	v_addc_co_u32_e32 v3, vcc, 0, v3, vcc
	s_waitcnt vmcnt(0) lgkmcnt(1)
	v_mul_f64 v[22:23], v[12:13], v[8:9]
	v_mul_f64 v[8:9], v[10:11], v[8:9]
	v_fmac_f64_e32 v[22:23], v[10:11], v[6:7]
	v_fma_f64 v[8:9], v[6:7], v[12:13], -v[8:9]
	v_mul_f64 v[6:7], v[22:23], s[0:1]
	v_mul_f64 v[8:9], v[8:9], s[0:1]
	global_store_dwordx4 v[18:19], v[6:9], off
	global_load_dwordx4 v[6:9], v[20:21], off offset:1664
	v_mad_u64_u32 v[18:19], s[6:7], s4, v4, v[18:19]
	v_add_u32_e32 v19, s2, v19
	s_waitcnt vmcnt(0) lgkmcnt(0)
	v_mul_f64 v[10:11], v[16:17], v[8:9]
	v_mul_f64 v[8:9], v[14:15], v[8:9]
	v_fmac_f64_e32 v[10:11], v[14:15], v[6:7]
	v_fma_f64 v[8:9], v[6:7], v[16:17], -v[8:9]
	v_mul_f64 v[6:7], v[10:11], s[0:1]
	v_mul_f64 v[8:9], v[8:9], s[0:1]
	global_store_dwordx4 v[18:19], v[6:9], off
	global_load_dwordx4 v[6:9], v[20:21], off offset:2560
	ds_read_b128 v[10:13], v49 offset:10752
	ds_read_b128 v[14:17], v49 offset:11648
	v_mad_u64_u32 v[18:19], s[6:7], s4, v4, v[18:19]
	v_add_u32_e32 v19, s2, v19
	s_waitcnt vmcnt(0) lgkmcnt(1)
	v_mul_f64 v[22:23], v[12:13], v[8:9]
	v_mul_f64 v[8:9], v[10:11], v[8:9]
	v_fmac_f64_e32 v[22:23], v[10:11], v[6:7]
	v_fma_f64 v[8:9], v[6:7], v[12:13], -v[8:9]
	v_mul_f64 v[6:7], v[22:23], s[0:1]
	v_mul_f64 v[8:9], v[8:9], s[0:1]
	global_store_dwordx4 v[18:19], v[6:9], off
	global_load_dwordx4 v[6:9], v[20:21], off offset:3456
	v_mad_u64_u32 v[18:19], s[6:7], s4, v4, v[18:19]
	v_add_u32_e32 v19, s2, v19
	s_waitcnt vmcnt(0) lgkmcnt(0)
	v_mul_f64 v[10:11], v[16:17], v[8:9]
	v_mul_f64 v[8:9], v[14:15], v[8:9]
	v_fmac_f64_e32 v[10:11], v[14:15], v[6:7]
	v_fma_f64 v[8:9], v[6:7], v[16:17], -v[8:9]
	v_mul_f64 v[6:7], v[10:11], s[0:1]
	v_mul_f64 v[8:9], v[8:9], s[0:1]
	global_store_dwordx4 v[18:19], v[6:9], off
	global_load_dwordx4 v[6:9], v[2:3], off offset:256
	ds_read_b128 v[10:13], v49 offset:12544
	ds_read_b128 v[14:17], v49 offset:13440
	v_mad_u64_u32 v[18:19], s[6:7], s4, v4, v[18:19]
	v_add_u32_e32 v19, s2, v19
	s_waitcnt vmcnt(0) lgkmcnt(1)
	v_mul_f64 v[20:21], v[12:13], v[8:9]
	v_mul_f64 v[8:9], v[10:11], v[8:9]
	v_fmac_f64_e32 v[20:21], v[10:11], v[6:7]
	v_fma_f64 v[8:9], v[6:7], v[12:13], -v[8:9]
	v_mul_f64 v[6:7], v[20:21], s[0:1]
	v_mul_f64 v[8:9], v[8:9], s[0:1]
	global_store_dwordx4 v[18:19], v[6:9], off
	global_load_dwordx4 v[6:9], v[2:3], off offset:1152
	v_mad_u64_u32 v[10:11], s[6:7], s4, v4, v[18:19]
	v_or_b32_e32 v13, 0x380, v226
	v_add_u32_e32 v11, s2, v11
	v_lshlrev_b32_e32 v12, 4, v13
	s_waitcnt vmcnt(0) lgkmcnt(0)
	v_mul_f64 v[2:3], v[16:17], v[8:9]
	v_mul_f64 v[4:5], v[14:15], v[8:9]
	v_fmac_f64_e32 v[2:3], v[14:15], v[6:7]
	v_fma_f64 v[4:5], v[6:7], v[16:17], -v[4:5]
	v_mul_f64 v[2:3], v[2:3], s[0:1]
	v_mul_f64 v[4:5], v[4:5], s[0:1]
	global_store_dwordx4 v[10:11], v[2:5], off
	global_load_dwordx4 v[2:5], v12, s[8:9]
	ds_read_b128 v[6:9], v49 offset:14336
	v_mad_u64_u32 v[10:11], s[2:3], s4, v13, 0
	v_mov_b32_e32 v12, v11
	v_mad_u64_u32 v[12:13], s[2:3], s5, v13, v[12:13]
	v_mov_b32_e32 v11, v12
	v_lshl_add_u64 v[0:1], v[10:11], 4, v[0:1]
	s_waitcnt vmcnt(0) lgkmcnt(0)
	v_mul_f64 v[12:13], v[8:9], v[4:5]
	v_mul_f64 v[4:5], v[6:7], v[4:5]
	v_fmac_f64_e32 v[12:13], v[6:7], v[2:3]
	v_fma_f64 v[4:5], v[2:3], v[8:9], -v[4:5]
	v_mul_f64 v[2:3], v[12:13], s[0:1]
	v_mul_f64 v[4:5], v[4:5], s[0:1]
	global_store_dwordx4 v[0:1], v[2:5], off
.LBB0_23:
	s_endpgm
	.section	.rodata,"a",@progbits
	.p2align	6, 0x0
	.amdhsa_kernel bluestein_single_fwd_len952_dim1_dp_op_CI_CI
		.amdhsa_group_segment_fixed_size 45696
		.amdhsa_private_segment_fixed_size 0
		.amdhsa_kernarg_size 104
		.amdhsa_user_sgpr_count 2
		.amdhsa_user_sgpr_dispatch_ptr 0
		.amdhsa_user_sgpr_queue_ptr 0
		.amdhsa_user_sgpr_kernarg_segment_ptr 1
		.amdhsa_user_sgpr_dispatch_id 0
		.amdhsa_user_sgpr_kernarg_preload_length 0
		.amdhsa_user_sgpr_kernarg_preload_offset 0
		.amdhsa_user_sgpr_private_segment_size 0
		.amdhsa_uses_dynamic_stack 0
		.amdhsa_enable_private_segment 0
		.amdhsa_system_sgpr_workgroup_id_x 1
		.amdhsa_system_sgpr_workgroup_id_y 0
		.amdhsa_system_sgpr_workgroup_id_z 0
		.amdhsa_system_sgpr_workgroup_info 0
		.amdhsa_system_vgpr_workitem_id 0
		.amdhsa_next_free_vgpr 472
		.amdhsa_next_free_sgpr 62
		.amdhsa_accum_offset 256
		.amdhsa_reserve_vcc 1
		.amdhsa_float_round_mode_32 0
		.amdhsa_float_round_mode_16_64 0
		.amdhsa_float_denorm_mode_32 3
		.amdhsa_float_denorm_mode_16_64 3
		.amdhsa_dx10_clamp 1
		.amdhsa_ieee_mode 1
		.amdhsa_fp16_overflow 0
		.amdhsa_tg_split 0
		.amdhsa_exception_fp_ieee_invalid_op 0
		.amdhsa_exception_fp_denorm_src 0
		.amdhsa_exception_fp_ieee_div_zero 0
		.amdhsa_exception_fp_ieee_overflow 0
		.amdhsa_exception_fp_ieee_underflow 0
		.amdhsa_exception_fp_ieee_inexact 0
		.amdhsa_exception_int_div_zero 0
	.end_amdhsa_kernel
	.text
.Lfunc_end0:
	.size	bluestein_single_fwd_len952_dim1_dp_op_CI_CI, .Lfunc_end0-bluestein_single_fwd_len952_dim1_dp_op_CI_CI
                                        ; -- End function
	.section	.AMDGPU.csdata,"",@progbits
; Kernel info:
; codeLenInByte = 31488
; NumSgprs: 68
; NumVgprs: 256
; NumAgprs: 216
; TotalNumVgprs: 472
; ScratchSize: 0
; MemoryBound: 0
; FloatMode: 240
; IeeeMode: 1
; LDSByteSize: 45696 bytes/workgroup (compile time only)
; SGPRBlocks: 8
; VGPRBlocks: 58
; NumSGPRsForWavesPerEU: 68
; NumVGPRsForWavesPerEU: 472
; AccumOffset: 256
; Occupancy: 1
; WaveLimiterHint : 1
; COMPUTE_PGM_RSRC2:SCRATCH_EN: 0
; COMPUTE_PGM_RSRC2:USER_SGPR: 2
; COMPUTE_PGM_RSRC2:TRAP_HANDLER: 0
; COMPUTE_PGM_RSRC2:TGID_X_EN: 1
; COMPUTE_PGM_RSRC2:TGID_Y_EN: 0
; COMPUTE_PGM_RSRC2:TGID_Z_EN: 0
; COMPUTE_PGM_RSRC2:TIDIG_COMP_CNT: 0
; COMPUTE_PGM_RSRC3_GFX90A:ACCUM_OFFSET: 63
; COMPUTE_PGM_RSRC3_GFX90A:TG_SPLIT: 0
	.text
	.p2alignl 6, 3212836864
	.fill 256, 4, 3212836864
	.type	__hip_cuid_ee8da5319b1a5223,@object ; @__hip_cuid_ee8da5319b1a5223
	.section	.bss,"aw",@nobits
	.globl	__hip_cuid_ee8da5319b1a5223
__hip_cuid_ee8da5319b1a5223:
	.byte	0                               ; 0x0
	.size	__hip_cuid_ee8da5319b1a5223, 1

	.ident	"AMD clang version 19.0.0git (https://github.com/RadeonOpenCompute/llvm-project roc-6.4.0 25133 c7fe45cf4b819c5991fe208aaa96edf142730f1d)"
	.section	".note.GNU-stack","",@progbits
	.addrsig
	.addrsig_sym __hip_cuid_ee8da5319b1a5223
	.amdgpu_metadata
---
amdhsa.kernels:
  - .agpr_count:     216
    .args:
      - .actual_access:  read_only
        .address_space:  global
        .offset:         0
        .size:           8
        .value_kind:     global_buffer
      - .actual_access:  read_only
        .address_space:  global
        .offset:         8
        .size:           8
        .value_kind:     global_buffer
      - .actual_access:  read_only
        .address_space:  global
        .offset:         16
        .size:           8
        .value_kind:     global_buffer
      - .actual_access:  read_only
        .address_space:  global
        .offset:         24
        .size:           8
        .value_kind:     global_buffer
      - .actual_access:  read_only
        .address_space:  global
        .offset:         32
        .size:           8
        .value_kind:     global_buffer
      - .offset:         40
        .size:           8
        .value_kind:     by_value
      - .address_space:  global
        .offset:         48
        .size:           8
        .value_kind:     global_buffer
      - .address_space:  global
        .offset:         56
        .size:           8
        .value_kind:     global_buffer
      - .address_space:  global
        .offset:         64
        .size:           8
        .value_kind:     global_buffer
      - .address_space:  global
        .offset:         72
        .size:           8
        .value_kind:     global_buffer
      - .offset:         80
        .size:           4
        .value_kind:     by_value
      - .address_space:  global
        .offset:         88
        .size:           8
        .value_kind:     global_buffer
      - .address_space:  global
        .offset:         96
        .size:           8
        .value_kind:     global_buffer
    .group_segment_fixed_size: 45696
    .kernarg_segment_align: 8
    .kernarg_segment_size: 104
    .language:       OpenCL C
    .language_version:
      - 2
      - 0
    .max_flat_workgroup_size: 204
    .name:           bluestein_single_fwd_len952_dim1_dp_op_CI_CI
    .private_segment_fixed_size: 0
    .sgpr_count:     68
    .sgpr_spill_count: 0
    .symbol:         bluestein_single_fwd_len952_dim1_dp_op_CI_CI.kd
    .uniform_work_group_size: 1
    .uses_dynamic_stack: false
    .vgpr_count:     472
    .vgpr_spill_count: 2
    .wavefront_size: 64
amdhsa.target:   amdgcn-amd-amdhsa--gfx950
amdhsa.version:
  - 1
  - 2
...

	.end_amdgpu_metadata
